;; amdgpu-corpus repo=vllm-project/vllm kind=compiled arch=gfx942 opt=O3
	.text
	.amdgcn_target "amdgcn-amd-amdhsa--gfx942"
	.amdhsa_code_object_version 6
	.protected	_ZN4vllm36cp_gather_and_upconvert_fp8_kv_cacheEPKhP14__hip_bfloat16PKiS5_iiillll ; -- Begin function _ZN4vllm36cp_gather_and_upconvert_fp8_kv_cacheEPKhP14__hip_bfloat16PKiS5_iiillll
	.globl	_ZN4vllm36cp_gather_and_upconvert_fp8_kv_cacheEPKhP14__hip_bfloat16PKiS5_iiillll
	.p2align	8
	.type	_ZN4vllm36cp_gather_and_upconvert_fp8_kv_cacheEPKhP14__hip_bfloat16PKiS5_iiillll,@function
_ZN4vllm36cp_gather_and_upconvert_fp8_kv_cacheEPKhP14__hip_bfloat16PKiS5_iiillll: ; @_ZN4vllm36cp_gather_and_upconvert_fp8_kv_cacheEPKhP14__hip_bfloat16PKiS5_iiillll
; %bb.0:
	s_load_dword s3, s[0:1], 0x5c
	s_load_dwordx4 s[20:23], s[0:1], 0x20
	s_waitcnt lgkmcnt(0)
	s_and_b32 s3, s3, 0xffff
	s_mul_i32 s2, s2, s3
	v_add_u32_e32 v1, s2, v0
	v_lshrrev_b32_e32 v1, 5, v1
	v_cmp_gt_i32_e32 vcc, s22, v1
	s_and_saveexec_b64 s[2:3], vcc
	s_cbranch_execz .LBB0_70
; %bb.1:
	s_load_dwordx8 s[4:11], s[0:1], 0x0
	s_cmp_lt_i32 s20, 2
	v_mov_b32_e32 v8, 0
	s_cbranch_scc1 .LBB0_5
; %bb.2:
	s_add_i32 s12, s20, -1
	s_mov_b64 s[2:3], 0
	v_mov_b32_e32 v3, 0
	v_mov_b32_e32 v4, s12
	;; [unrolled: 1-line block ×3, first 2 shown]
.LBB0_3:                                ; =>This Inner Loop Header: Depth=1
	v_add3_u32 v2, v4, v8, 1
	v_lshrrev_b32_e32 v2, 1, v2
	s_waitcnt lgkmcnt(0)
	v_lshl_add_u64 v[6:7], v[2:3], 2, s[10:11]
	global_load_dword v5, v[6:7], off
	v_add_u32_e32 v6, -1, v2
	s_waitcnt vmcnt(0)
	v_cmp_gt_i32_e32 vcc, v5, v1
	s_nop 1
	v_cndmask_b32_e32 v4, v4, v6, vcc
	v_cndmask_b32_e32 v8, v2, v8, vcc
	v_cmp_ge_i32_e32 vcc, v8, v4
	s_or_b64 s[2:3], vcc, s[2:3]
	s_andn2_b64 exec, exec, s[2:3]
	s_cbranch_execnz .LBB0_3
; %bb.4:
	s_or_b64 exec, exec, s[2:3]
.LBB0_5:
	v_mov_b32_e32 v9, 0
	s_waitcnt lgkmcnt(0)
	v_lshl_add_u64 v[2:3], v[8:9], 2, s[10:11]
	global_load_dword v6, v[2:3], off
	s_abs_i32 s2, s21
	v_cvt_f32_u32_e32 v2, s2
	s_load_dwordx8 s[12:19], s[0:1], 0x30
	s_sub_i32 s3, 0, s2
	v_rcp_iflag_f32_e32 v5, v2
	s_waitcnt lgkmcnt(0)
	v_mad_u64_u32 v[2:3], s[0:1], v8, s12, 0
	v_mov_b32_e32 v4, v3
	v_mul_f32_e32 v3, 0x4f7ffffe, v5
	v_cvt_u32_f32_e32 v7, v3
	v_mad_u64_u32 v[4:5], s[0:1], v8, s13, v[4:5]
	v_mov_b32_e32 v3, v4
	v_mul_lo_u32 v4, s3, v7
	v_mul_hi_u32 v4, v7, v4
	v_add_u32_e32 v4, v7, v4
	v_lshl_add_u64 v[2:3], v[2:3], 2, s[8:9]
	s_waitcnt vmcnt(0)
	v_sub_u32_e32 v6, v1, v6
	v_sub_u32_e32 v7, 0, v6
	v_max_i32_e32 v7, v6, v7
	v_mul_hi_u32 v4, v7, v4
	v_mul_lo_u32 v8, v4, s2
	v_sub_u32_e32 v7, v7, v8
	v_add_u32_e32 v10, 1, v4
	v_cmp_le_u32_e32 vcc, s2, v7
	v_subrev_u32_e32 v8, s2, v7
	v_xor_b32_e32 v5, s21, v6
	v_cndmask_b32_e32 v4, v4, v10, vcc
	v_cndmask_b32_e32 v7, v7, v8, vcc
	v_add_u32_e32 v8, 1, v4
	v_cmp_le_u32_e32 vcc, s2, v7
	v_ashrrev_i32_e32 v5, 31, v5
	v_and_b32_e32 v10, 31, v0
	v_cndmask_b32_e32 v4, v4, v8, vcc
	v_xor_b32_e32 v4, v4, v5
	v_sub_u32_e32 v4, v4, v5
	v_ashrrev_i32_e32 v5, 31, v4
	v_lshl_add_u64 v[2:3], v[4:5], 2, v[2:3]
	global_load_dword v5, v[2:3], off
	v_mov_b64_e32 v[2:3], s[4:5]
	v_mul_lo_u32 v4, v4, s21
	v_sub_u32_e32 v4, v6, v4
	v_ashrrev_i32_e32 v6, 31, v4
	v_mul_lo_u32 v7, v4, s17
	v_mul_lo_u32 v6, v6, s16
	v_lshlrev_b32_e32 v8, 4, v10
	v_lshrrev_b32_e32 v0, 1, v0
	s_waitcnt vmcnt(0)
	v_ashrrev_i32_e32 v11, 31, v5
	v_mul_lo_u32 v12, v5, s15
	v_mad_u64_u32 v[2:3], s[0:1], v5, s14, v[2:3]
	v_mul_lo_u32 v5, v11, s14
	v_add3_u32 v3, v5, v3, v12
	v_mad_u64_u32 v[12:13], s[0:1], v4, s16, v[2:3]
	v_add3_u32 v13, v6, v13, v7
	v_lshl_add_u64 v[6:7], v[12:13], 0, v[8:9]
	global_load_dwordx4 v[2:5], v[6:7], off
	v_and_b32_e32 v8, 12, v0
	v_lshl_add_u64 v[8:9], v[12:13], 0, v[8:9]
	global_load_dword v9, v[8:9], off offset:512
	s_mov_b32 s0, 0x7f800000
	s_waitcnt vmcnt(1)
	v_and_b32_e32 v0, 0xff, v2
	v_cvt_f32_fp8_sdwa v0, v0 src0_sel:BYTE_0
	s_waitcnt vmcnt(0)
	v_mul_f32_e32 v8, v9, v0
	v_and_b32_e32 v0, 0x7f800000, v8
	v_cmp_ne_u32_e32 vcc, s0, v0
                                        ; implicit-def: $vgpr0
	s_and_saveexec_b64 s[0:1], vcc
	s_xor_b64 s[0:1], exec, s[0:1]
; %bb.6:
	v_bfe_u32 v0, v8, 16, 1
	s_movk_i32 s2, 0x7fff
	v_add3_u32 v0, v8, v0, s2
                                        ; implicit-def: $vgpr8
; %bb.7:
	s_andn2_saveexec_b64 s[0:1], s[0:1]
; %bb.8:
	v_mov_b32_e32 v0, 0
	v_or_b32_e32 v11, 0x10000, v8
	v_cmp_eq_u32_sdwa vcc, v8, v0 src0_sel:WORD_0 src1_sel:DWORD
	s_nop 1
	v_cndmask_b32_e32 v0, v11, v8, vcc
; %bb.9:
	s_or_b64 exec, exec, s[0:1]
	v_bfe_u32 v8, v2, 8, 8
	v_cvt_f32_fp8_sdwa v8, v8 src0_sel:BYTE_0
	s_mov_b32 s0, 0x7f800000
	v_mul_f32_e32 v11, v9, v8
	v_and_b32_e32 v8, 0x7f800000, v11
	v_cmp_ne_u32_e32 vcc, s0, v8
                                        ; implicit-def: $vgpr8
	s_and_saveexec_b64 s[0:1], vcc
	s_xor_b64 s[0:1], exec, s[0:1]
; %bb.10:
	v_bfe_u32 v8, v11, 16, 1
	s_movk_i32 s2, 0x7fff
	v_add3_u32 v8, v11, v8, s2
                                        ; implicit-def: $vgpr11
; %bb.11:
	s_andn2_saveexec_b64 s[0:1], s[0:1]
; %bb.12:
	v_mov_b32_e32 v8, 0
	v_or_b32_e32 v12, 0x10000, v11
	v_cmp_eq_u32_sdwa vcc, v11, v8 src0_sel:WORD_0 src1_sel:DWORD
	s_nop 1
	v_cndmask_b32_e32 v8, v12, v11, vcc
; %bb.13:
	s_or_b64 exec, exec, s[0:1]
	v_bfe_u32 v11, v2, 16, 8
	v_cvt_f32_fp8_sdwa v11, v11 src0_sel:BYTE_0
	s_mov_b32 s0, 0x7f800000
	v_mul_f32_e32 v12, v9, v11
	v_and_b32_e32 v11, 0x7f800000, v12
	v_cmp_ne_u32_e32 vcc, s0, v11
                                        ; implicit-def: $vgpr11
	s_and_saveexec_b64 s[0:1], vcc
	s_xor_b64 s[0:1], exec, s[0:1]
; %bb.14:
	v_bfe_u32 v11, v12, 16, 1
	s_movk_i32 s2, 0x7fff
	v_add3_u32 v11, v12, v11, s2
                                        ; implicit-def: $vgpr12
; %bb.15:
	s_andn2_saveexec_b64 s[0:1], s[0:1]
; %bb.16:
	v_mov_b32_e32 v11, 0
	v_or_b32_e32 v13, 0x10000, v12
	v_cmp_eq_u32_sdwa vcc, v12, v11 src0_sel:WORD_0 src1_sel:DWORD
	s_nop 1
	v_cndmask_b32_e32 v11, v13, v12, vcc
; %bb.17:
	s_or_b64 exec, exec, s[0:1]
	v_lshrrev_b32_e32 v2, 24, v2
	v_cvt_f32_fp8_sdwa v2, v2 src0_sel:BYTE_0
	s_mov_b32 s0, 0x7f800000
	v_mul_f32_e32 v12, v9, v2
	v_and_b32_e32 v2, 0x7f800000, v12
	v_cmp_ne_u32_e32 vcc, s0, v2
                                        ; implicit-def: $vgpr2
	s_and_saveexec_b64 s[0:1], vcc
	s_xor_b64 s[0:1], exec, s[0:1]
; %bb.18:
	v_bfe_u32 v2, v12, 16, 1
	s_movk_i32 s2, 0x7fff
	v_add3_u32 v2, v12, v2, s2
                                        ; implicit-def: $vgpr12
; %bb.19:
	s_andn2_saveexec_b64 s[0:1], s[0:1]
; %bb.20:
	v_mov_b32_e32 v2, 0
	v_or_b32_e32 v13, 0x10000, v12
	v_cmp_eq_u32_sdwa vcc, v12, v2 src0_sel:WORD_0 src1_sel:DWORD
	s_nop 1
	v_cndmask_b32_e32 v2, v13, v12, vcc
; %bb.21:
	s_or_b64 exec, exec, s[0:1]
	v_and_b32_e32 v12, 0xff, v3
	v_cvt_f32_fp8_sdwa v12, v12 src0_sel:BYTE_0
	s_mov_b32 s0, 0x7f800000
	v_mul_f32_e32 v13, v9, v12
	v_and_b32_e32 v12, 0x7f800000, v13
	v_cmp_ne_u32_e32 vcc, s0, v12
                                        ; implicit-def: $vgpr12
	s_and_saveexec_b64 s[0:1], vcc
	s_xor_b64 s[0:1], exec, s[0:1]
; %bb.22:
	v_bfe_u32 v12, v13, 16, 1
	s_movk_i32 s2, 0x7fff
	v_add3_u32 v12, v13, v12, s2
                                        ; implicit-def: $vgpr13
; %bb.23:
	s_andn2_saveexec_b64 s[0:1], s[0:1]
; %bb.24:
	v_mov_b32_e32 v12, 0
	v_or_b32_e32 v14, 0x10000, v13
	v_cmp_eq_u32_sdwa vcc, v13, v12 src0_sel:WORD_0 src1_sel:DWORD
	s_nop 1
	v_cndmask_b32_e32 v12, v14, v13, vcc
; %bb.25:
	s_or_b64 exec, exec, s[0:1]
	v_bfe_u32 v13, v3, 8, 8
	v_cvt_f32_fp8_sdwa v13, v13 src0_sel:BYTE_0
	s_mov_b32 s0, 0x7f800000
	v_mul_f32_e32 v14, v9, v13
	v_and_b32_e32 v13, 0x7f800000, v14
	v_cmp_ne_u32_e32 vcc, s0, v13
                                        ; implicit-def: $vgpr13
	s_and_saveexec_b64 s[0:1], vcc
	s_xor_b64 s[0:1], exec, s[0:1]
; %bb.26:
	v_bfe_u32 v13, v14, 16, 1
	s_movk_i32 s2, 0x7fff
	v_add3_u32 v13, v14, v13, s2
                                        ; implicit-def: $vgpr14
; %bb.27:
	s_andn2_saveexec_b64 s[0:1], s[0:1]
; %bb.28:
	v_mov_b32_e32 v13, 0
	v_or_b32_e32 v15, 0x10000, v14
	v_cmp_eq_u32_sdwa vcc, v14, v13 src0_sel:WORD_0 src1_sel:DWORD
	s_nop 1
	v_cndmask_b32_e32 v13, v15, v14, vcc
; %bb.29:
	s_or_b64 exec, exec, s[0:1]
	v_bfe_u32 v14, v3, 16, 8
	v_cvt_f32_fp8_sdwa v14, v14 src0_sel:BYTE_0
	s_mov_b32 s0, 0x7f800000
	v_mul_f32_e32 v15, v9, v14
	v_and_b32_e32 v14, 0x7f800000, v15
	v_cmp_ne_u32_e32 vcc, s0, v14
                                        ; implicit-def: $vgpr14
	s_and_saveexec_b64 s[0:1], vcc
	s_xor_b64 s[0:1], exec, s[0:1]
; %bb.30:
	v_bfe_u32 v14, v15, 16, 1
	s_movk_i32 s2, 0x7fff
	v_add3_u32 v14, v15, v14, s2
                                        ; implicit-def: $vgpr15
; %bb.31:
	s_andn2_saveexec_b64 s[0:1], s[0:1]
; %bb.32:
	v_mov_b32_e32 v14, 0
	v_or_b32_e32 v16, 0x10000, v15
	v_cmp_eq_u32_sdwa vcc, v15, v14 src0_sel:WORD_0 src1_sel:DWORD
	s_nop 1
	v_cndmask_b32_e32 v14, v16, v15, vcc
; %bb.33:
	s_or_b64 exec, exec, s[0:1]
	v_lshrrev_b32_e32 v3, 24, v3
	v_cvt_f32_fp8_sdwa v3, v3 src0_sel:BYTE_0
	s_mov_b32 s0, 0x7f800000
	v_mul_f32_e32 v15, v9, v3
	v_and_b32_e32 v3, 0x7f800000, v15
	v_cmp_ne_u32_e32 vcc, s0, v3
                                        ; implicit-def: $vgpr3
	s_and_saveexec_b64 s[0:1], vcc
	s_xor_b64 s[0:1], exec, s[0:1]
; %bb.34:
	v_bfe_u32 v3, v15, 16, 1
	s_movk_i32 s2, 0x7fff
	v_add3_u32 v3, v15, v3, s2
                                        ; implicit-def: $vgpr15
; %bb.35:
	s_andn2_saveexec_b64 s[0:1], s[0:1]
; %bb.36:
	v_mov_b32_e32 v3, 0
	v_or_b32_e32 v16, 0x10000, v15
	v_cmp_eq_u32_sdwa vcc, v15, v3 src0_sel:WORD_0 src1_sel:DWORD
	s_nop 1
	v_cndmask_b32_e32 v3, v16, v15, vcc
; %bb.37:
	s_or_b64 exec, exec, s[0:1]
	v_and_b32_e32 v15, 0xff, v4
	v_cvt_f32_fp8_sdwa v15, v15 src0_sel:BYTE_0
	s_mov_b32 s0, 0x7f800000
	v_mul_f32_e32 v16, v9, v15
	v_and_b32_e32 v15, 0x7f800000, v16
	v_cmp_ne_u32_e32 vcc, s0, v15
                                        ; implicit-def: $vgpr15
	s_and_saveexec_b64 s[0:1], vcc
	s_xor_b64 s[0:1], exec, s[0:1]
; %bb.38:
	v_bfe_u32 v15, v16, 16, 1
	s_movk_i32 s2, 0x7fff
	v_add3_u32 v15, v16, v15, s2
                                        ; implicit-def: $vgpr16
; %bb.39:
	s_andn2_saveexec_b64 s[0:1], s[0:1]
; %bb.40:
	v_mov_b32_e32 v15, 0
	v_or_b32_e32 v17, 0x10000, v16
	v_cmp_eq_u32_sdwa vcc, v16, v15 src0_sel:WORD_0 src1_sel:DWORD
	s_nop 1
	v_cndmask_b32_e32 v15, v17, v16, vcc
; %bb.41:
	s_or_b64 exec, exec, s[0:1]
	v_bfe_u32 v16, v4, 8, 8
	v_cvt_f32_fp8_sdwa v16, v16 src0_sel:BYTE_0
	s_mov_b32 s0, 0x7f800000
	v_mul_f32_e32 v17, v9, v16
	v_and_b32_e32 v16, 0x7f800000, v17
	v_cmp_ne_u32_e32 vcc, s0, v16
                                        ; implicit-def: $vgpr16
	s_and_saveexec_b64 s[0:1], vcc
	s_xor_b64 s[0:1], exec, s[0:1]
; %bb.42:
	v_bfe_u32 v16, v17, 16, 1
	s_movk_i32 s2, 0x7fff
	v_add3_u32 v16, v17, v16, s2
                                        ; implicit-def: $vgpr17
; %bb.43:
	s_andn2_saveexec_b64 s[0:1], s[0:1]
; %bb.44:
	v_mov_b32_e32 v16, 0
	v_or_b32_e32 v18, 0x10000, v17
	v_cmp_eq_u32_sdwa vcc, v17, v16 src0_sel:WORD_0 src1_sel:DWORD
	s_nop 1
	v_cndmask_b32_e32 v16, v18, v17, vcc
; %bb.45:
	s_or_b64 exec, exec, s[0:1]
	v_bfe_u32 v17, v4, 16, 8
	v_cvt_f32_fp8_sdwa v17, v17 src0_sel:BYTE_0
	s_mov_b32 s0, 0x7f800000
	v_mul_f32_e32 v18, v9, v17
	v_and_b32_e32 v17, 0x7f800000, v18
	v_cmp_ne_u32_e32 vcc, s0, v17
                                        ; implicit-def: $vgpr17
	s_and_saveexec_b64 s[0:1], vcc
	s_xor_b64 s[0:1], exec, s[0:1]
; %bb.46:
	v_bfe_u32 v17, v18, 16, 1
	s_movk_i32 s2, 0x7fff
	v_add3_u32 v17, v18, v17, s2
                                        ; implicit-def: $vgpr18
; %bb.47:
	s_andn2_saveexec_b64 s[0:1], s[0:1]
; %bb.48:
	v_mov_b32_e32 v17, 0
	v_or_b32_e32 v19, 0x10000, v18
	v_cmp_eq_u32_sdwa vcc, v18, v17 src0_sel:WORD_0 src1_sel:DWORD
	s_nop 1
	v_cndmask_b32_e32 v17, v19, v18, vcc
; %bb.49:
	s_or_b64 exec, exec, s[0:1]
	v_lshrrev_b32_e32 v4, 24, v4
	v_cvt_f32_fp8_sdwa v4, v4 src0_sel:BYTE_0
	s_mov_b32 s0, 0x7f800000
	v_mul_f32_e32 v18, v9, v4
	v_and_b32_e32 v4, 0x7f800000, v18
	v_cmp_ne_u32_e32 vcc, s0, v4
                                        ; implicit-def: $vgpr4
	s_and_saveexec_b64 s[0:1], vcc
	s_xor_b64 s[0:1], exec, s[0:1]
; %bb.50:
	v_bfe_u32 v4, v18, 16, 1
	s_movk_i32 s2, 0x7fff
	v_add3_u32 v4, v18, v4, s2
                                        ; implicit-def: $vgpr18
; %bb.51:
	s_andn2_saveexec_b64 s[0:1], s[0:1]
; %bb.52:
	v_mov_b32_e32 v4, 0
	v_or_b32_e32 v19, 0x10000, v18
	v_cmp_eq_u32_sdwa vcc, v18, v4 src0_sel:WORD_0 src1_sel:DWORD
	s_nop 1
	v_cndmask_b32_e32 v4, v19, v18, vcc
; %bb.53:
	s_or_b64 exec, exec, s[0:1]
	v_and_b32_e32 v18, 0xff, v5
	v_cvt_f32_fp8_sdwa v18, v18 src0_sel:BYTE_0
	s_mov_b32 s0, 0x7f800000
	v_mul_f32_e32 v19, v9, v18
	v_and_b32_e32 v18, 0x7f800000, v19
	v_cmp_ne_u32_e32 vcc, s0, v18
                                        ; implicit-def: $vgpr18
	s_and_saveexec_b64 s[0:1], vcc
	s_xor_b64 s[0:1], exec, s[0:1]
; %bb.54:
	v_bfe_u32 v18, v19, 16, 1
	s_movk_i32 s2, 0x7fff
	v_add3_u32 v18, v19, v18, s2
                                        ; implicit-def: $vgpr19
; %bb.55:
	s_andn2_saveexec_b64 s[0:1], s[0:1]
; %bb.56:
	v_mov_b32_e32 v18, 0
	v_or_b32_e32 v20, 0x10000, v19
	v_cmp_eq_u32_sdwa vcc, v19, v18 src0_sel:WORD_0 src1_sel:DWORD
	s_nop 1
	v_cndmask_b32_e32 v18, v20, v19, vcc
; %bb.57:
	s_or_b64 exec, exec, s[0:1]
	v_bfe_u32 v19, v5, 8, 8
	v_cvt_f32_fp8_sdwa v19, v19 src0_sel:BYTE_0
	s_mov_b32 s0, 0x7f800000
	v_mul_f32_e32 v20, v9, v19
	v_and_b32_e32 v19, 0x7f800000, v20
	v_cmp_ne_u32_e32 vcc, s0, v19
                                        ; implicit-def: $vgpr19
	s_and_saveexec_b64 s[0:1], vcc
	s_xor_b64 s[0:1], exec, s[0:1]
; %bb.58:
	v_bfe_u32 v19, v20, 16, 1
	s_movk_i32 s2, 0x7fff
	v_add3_u32 v19, v20, v19, s2
                                        ; implicit-def: $vgpr20
; %bb.59:
	s_andn2_saveexec_b64 s[0:1], s[0:1]
; %bb.60:
	v_mov_b32_e32 v19, 0
	v_or_b32_e32 v21, 0x10000, v20
	v_cmp_eq_u32_sdwa vcc, v20, v19 src0_sel:WORD_0 src1_sel:DWORD
	s_nop 1
	v_cndmask_b32_e32 v19, v21, v20, vcc
; %bb.61:
	s_or_b64 exec, exec, s[0:1]
	v_bfe_u32 v20, v5, 16, 8
	v_cvt_f32_fp8_sdwa v20, v20 src0_sel:BYTE_0
	s_mov_b32 s0, 0x7f800000
	v_mul_f32_e32 v21, v9, v20
	v_and_b32_e32 v20, 0x7f800000, v21
	v_cmp_ne_u32_e32 vcc, s0, v20
                                        ; implicit-def: $vgpr20
	s_and_saveexec_b64 s[0:1], vcc
	s_xor_b64 s[0:1], exec, s[0:1]
; %bb.62:
	v_bfe_u32 v20, v21, 16, 1
	s_movk_i32 s2, 0x7fff
	v_add3_u32 v20, v21, v20, s2
                                        ; implicit-def: $vgpr21
; %bb.63:
	s_andn2_saveexec_b64 s[0:1], s[0:1]
; %bb.64:
	v_mov_b32_e32 v20, 0
	v_or_b32_e32 v22, 0x10000, v21
	v_cmp_eq_u32_sdwa vcc, v21, v20 src0_sel:WORD_0 src1_sel:DWORD
	s_nop 1
	v_cndmask_b32_e32 v20, v22, v21, vcc
; %bb.65:
	s_or_b64 exec, exec, s[0:1]
	v_lshrrev_b32_e32 v5, 24, v5
	v_cvt_f32_fp8_sdwa v5, v5 src0_sel:BYTE_0
	s_mov_b32 s0, 0x7f800000
	v_mul_f32_e32 v9, v9, v5
	v_and_b32_e32 v5, 0x7f800000, v9
	v_cmp_ne_u32_e32 vcc, s0, v5
                                        ; implicit-def: $vgpr5
	s_and_saveexec_b64 s[0:1], vcc
	s_xor_b64 s[0:1], exec, s[0:1]
; %bb.66:
	v_bfe_u32 v5, v9, 16, 1
	s_movk_i32 s2, 0x7fff
	v_add3_u32 v5, v9, v5, s2
                                        ; implicit-def: $vgpr9
; %bb.67:
	s_andn2_saveexec_b64 s[0:1], s[0:1]
; %bb.68:
	v_mov_b32_e32 v5, 0
	v_or_b32_e32 v21, 0x10000, v9
	v_cmp_eq_u32_sdwa vcc, v9, v5 src0_sel:WORD_0 src1_sel:DWORD
	s_nop 1
	v_cndmask_b32_e32 v5, v21, v9, vcc
; %bb.69:
	s_or_b64 exec, exec, s[0:1]
	v_mul_hi_i32_i24_e32 v23, -12, v10
	v_mul_i32_i24_e32 v22, -12, v10
	v_lshl_add_u64 v[6:7], v[6:7], 0, v[22:23]
	global_load_dword v9, v[6:7], off offset:528
	v_mad_u64_u32 v[6:7], s[0:1], v1, s18, 0
	v_mov_b32_e32 v22, v7
	v_mad_u64_u32 v[22:23], s[0:1], v1, s19, v[22:23]
	v_mov_b32_e32 v7, v22
	v_lshl_add_u64 v[6:7], v[6:7], 1, s[6:7]
	v_lshlrev_b32_e32 v26, 5, v10
	v_mov_b32_e32 v27, 0
	s_mov_b32 s0, 0x7060302
	v_lshl_add_u64 v[28:29], v[6:7], 0, v[26:27]
	v_perm_b32 v25, v3, v14, s0
	v_perm_b32 v23, v2, v11, s0
	;; [unrolled: 1-line block ×7, first 2 shown]
	v_lshlrev_b32_e32 v26, 2, v10
	v_perm_b32 v24, v13, v12, s0
	global_store_dwordx4 v[28:29], v[0:3], off offset:16
	global_store_dwordx4 v[28:29], v[22:25], off
	s_nop 0
	v_lshl_add_u64 v[0:1], v[6:7], 0, v[26:27]
	s_waitcnt vmcnt(2)
	global_store_dword v[0:1], v9, off offset:1024
.LBB0_70:
	s_endpgm
	.section	.rodata,"a",@progbits
	.p2align	6, 0x0
	.amdhsa_kernel _ZN4vllm36cp_gather_and_upconvert_fp8_kv_cacheEPKhP14__hip_bfloat16PKiS5_iiillll
		.amdhsa_group_segment_fixed_size 0
		.amdhsa_private_segment_fixed_size 0
		.amdhsa_kernarg_size 336
		.amdhsa_user_sgpr_count 2
		.amdhsa_user_sgpr_dispatch_ptr 0
		.amdhsa_user_sgpr_queue_ptr 0
		.amdhsa_user_sgpr_kernarg_segment_ptr 1
		.amdhsa_user_sgpr_dispatch_id 0
		.amdhsa_user_sgpr_kernarg_preload_length 0
		.amdhsa_user_sgpr_kernarg_preload_offset 0
		.amdhsa_user_sgpr_private_segment_size 0
		.amdhsa_uses_dynamic_stack 0
		.amdhsa_enable_private_segment 0
		.amdhsa_system_sgpr_workgroup_id_x 1
		.amdhsa_system_sgpr_workgroup_id_y 0
		.amdhsa_system_sgpr_workgroup_id_z 0
		.amdhsa_system_sgpr_workgroup_info 0
		.amdhsa_system_vgpr_workitem_id 0
		.amdhsa_next_free_vgpr 30
		.amdhsa_next_free_sgpr 24
		.amdhsa_accum_offset 32
		.amdhsa_reserve_vcc 1
		.amdhsa_float_round_mode_32 0
		.amdhsa_float_round_mode_16_64 0
		.amdhsa_float_denorm_mode_32 3
		.amdhsa_float_denorm_mode_16_64 3
		.amdhsa_dx10_clamp 1
		.amdhsa_ieee_mode 1
		.amdhsa_fp16_overflow 0
		.amdhsa_tg_split 0
		.amdhsa_exception_fp_ieee_invalid_op 0
		.amdhsa_exception_fp_denorm_src 0
		.amdhsa_exception_fp_ieee_div_zero 0
		.amdhsa_exception_fp_ieee_overflow 0
		.amdhsa_exception_fp_ieee_underflow 0
		.amdhsa_exception_fp_ieee_inexact 0
		.amdhsa_exception_int_div_zero 0
	.end_amdhsa_kernel
	.text
.Lfunc_end0:
	.size	_ZN4vllm36cp_gather_and_upconvert_fp8_kv_cacheEPKhP14__hip_bfloat16PKiS5_iiillll, .Lfunc_end0-_ZN4vllm36cp_gather_and_upconvert_fp8_kv_cacheEPKhP14__hip_bfloat16PKiS5_iiillll
                                        ; -- End function
	.section	.AMDGPU.csdata,"",@progbits
; Kernel info:
; codeLenInByte = 2376
; NumSgprs: 30
; NumVgprs: 30
; NumAgprs: 0
; TotalNumVgprs: 30
; ScratchSize: 0
; MemoryBound: 0
; FloatMode: 240
; IeeeMode: 1
; LDSByteSize: 0 bytes/workgroup (compile time only)
; SGPRBlocks: 3
; VGPRBlocks: 3
; NumSGPRsForWavesPerEU: 30
; NumVGPRsForWavesPerEU: 30
; AccumOffset: 32
; Occupancy: 8
; WaveLimiterHint : 1
; COMPUTE_PGM_RSRC2:SCRATCH_EN: 0
; COMPUTE_PGM_RSRC2:USER_SGPR: 2
; COMPUTE_PGM_RSRC2:TRAP_HANDLER: 0
; COMPUTE_PGM_RSRC2:TGID_X_EN: 1
; COMPUTE_PGM_RSRC2:TGID_Y_EN: 0
; COMPUTE_PGM_RSRC2:TGID_Z_EN: 0
; COMPUTE_PGM_RSRC2:TIDIG_COMP_CNT: 0
; COMPUTE_PGM_RSRC3_GFX90A:ACCUM_OFFSET: 7
; COMPUTE_PGM_RSRC3_GFX90A:TG_SPLIT: 0
	.section	.text._ZN4vllm24reshape_and_cache_kernelIffLNS_18Fp8KVCacheDataTypeE0EEEvPKT_S4_PT0_S6_PKliiiiiiPKfSA_,"axG",@progbits,_ZN4vllm24reshape_and_cache_kernelIffLNS_18Fp8KVCacheDataTypeE0EEEvPKT_S4_PT0_S6_PKliiiiiiPKfSA_,comdat
	.protected	_ZN4vllm24reshape_and_cache_kernelIffLNS_18Fp8KVCacheDataTypeE0EEEvPKT_S4_PT0_S6_PKliiiiiiPKfSA_ ; -- Begin function _ZN4vllm24reshape_and_cache_kernelIffLNS_18Fp8KVCacheDataTypeE0EEEvPKT_S4_PT0_S6_PKliiiiiiPKfSA_
	.globl	_ZN4vllm24reshape_and_cache_kernelIffLNS_18Fp8KVCacheDataTypeE0EEEvPKT_S4_PT0_S6_PKliiiiiiPKfSA_
	.p2align	8
	.type	_ZN4vllm24reshape_and_cache_kernelIffLNS_18Fp8KVCacheDataTypeE0EEEvPKT_S4_PT0_S6_PKliiiiiiPKfSA_,@function
_ZN4vllm24reshape_and_cache_kernelIffLNS_18Fp8KVCacheDataTypeE0EEEvPKT_S4_PT0_S6_PKliiiiiiPKfSA_: ; @_ZN4vllm24reshape_and_cache_kernelIffLNS_18Fp8KVCacheDataTypeE0EEEvPKT_S4_PT0_S6_PKliiiiiiPKfSA_
; %bb.0:
	s_load_dwordx2 s[4:5], s[0:1], 0x20
	s_mov_b32 s3, 0
	s_lshl_b64 s[6:7], s[2:3], 3
	s_waitcnt lgkmcnt(0)
	s_add_u32 s4, s4, s6
	s_addc_u32 s5, s5, s7
	s_load_dwordx2 s[12:13], s[4:5], 0x0
	s_waitcnt lgkmcnt(0)
	v_cmp_lt_i64_e64 s[4:5], s[12:13], 0
	s_and_b64 vcc, exec, s[4:5]
	s_cbranch_vccnz .LBB1_44
; %bb.1:
	s_load_dwordx2 s[6:7], s[0:1], 0x38
	s_load_dwordx4 s[8:11], s[0:1], 0x28
	s_waitcnt lgkmcnt(0)
	s_abs_i32 s3, s7
	v_cvt_f32_u32_e32 v1, s3
	s_sub_i32 s14, 0, s3
	s_abs_i32 s5, s11
	s_xor_b32 s4, s11, s7
	v_rcp_iflag_f32_e32 v1, v1
	s_ashr_i32 s4, s4, 31
	v_mul_f32_e32 v1, 0x4f7ffffe, v1
	v_cvt_u32_f32_e32 v1, v1
	s_nop 0
	v_readfirstlane_b32 s15, v1
	s_mul_i32 s14, s14, s15
	s_mul_hi_u32 s14, s15, s14
	s_add_i32 s15, s15, s14
	s_mul_hi_u32 s14, s5, s15
	s_mul_i32 s15, s14, s3
	s_sub_i32 s5, s5, s15
	s_add_i32 s16, s14, 1
	s_sub_i32 s15, s5, s3
	s_cmp_ge_u32 s5, s3
	s_cselect_b32 s14, s16, s14
	s_cselect_b32 s5, s15, s5
	s_add_i32 s15, s14, 1
	s_cmp_ge_u32 s5, s3
	s_cselect_b32 s3, s15, s14
	s_xor_b32 s3, s3, s4
	s_sub_i32 s3, s3, s4
	s_mul_i32 s20, s3, s10
	v_cmp_gt_i32_e32 vcc, s20, v0
	s_and_saveexec_b64 s[4:5], vcc
	s_cbranch_execz .LBB1_44
; %bb.2:
	s_load_dwordx2 s[16:17], s[0:1], 0x0
	s_load_dwordx2 s[18:19], s[0:1], 0x10
	s_ashr_i32 s15, s6, 31
	s_mov_b32 s14, s6
	s_or_b64 s[4:5], s[12:13], s[14:15]
	s_mov_b32 s4, 0
	s_cmp_lg_u64 s[4:5], 0
	s_cbranch_scc0 .LBB1_27
; %bb.3:
	s_add_u32 s4, s14, s15
	s_mov_b32 s24, s15
	s_mov_b32 s25, s15
	s_addc_u32 s5, s15, s15
	s_xor_b64 s[26:27], s[4:5], s[24:25]
	v_cvt_f32_u32_e32 v1, s26
	v_cvt_f32_u32_e32 v2, s27
	s_sub_u32 s4, 0, s26
	s_subb_u32 s5, 0, s27
	v_fmamk_f32 v1, v2, 0x4f800000, v1
	v_rcp_f32_e32 v1, v1
	s_nop 0
	v_mul_f32_e32 v1, 0x5f7ffffc, v1
	v_mul_f32_e32 v2, 0x2f800000, v1
	v_trunc_f32_e32 v2, v2
	v_fmamk_f32 v1, v2, 0xcf800000, v1
	v_cvt_u32_f32_e32 v2, v2
	v_cvt_u32_f32_e32 v1, v1
	v_readfirstlane_b32 s21, v2
	v_readfirstlane_b32 s28, v1
	s_mul_i32 s29, s4, s21
	s_mul_hi_u32 s31, s4, s28
	s_mul_i32 s30, s5, s28
	s_add_i32 s29, s31, s29
	s_add_i32 s29, s29, s30
	s_mul_i32 s33, s4, s28
	s_mul_hi_u32 s30, s28, s29
	s_mul_i32 s31, s28, s29
	s_mul_hi_u32 s28, s28, s33
	s_add_u32 s28, s28, s31
	s_addc_u32 s30, 0, s30
	s_mul_hi_u32 s34, s21, s33
	s_mul_i32 s33, s21, s33
	s_add_u32 s28, s28, s33
	s_mul_hi_u32 s31, s21, s29
	s_addc_u32 s28, s30, s34
	s_addc_u32 s30, s31, 0
	s_mul_i32 s29, s21, s29
	s_add_u32 s28, s28, s29
	s_addc_u32 s29, 0, s30
	v_add_co_u32_e32 v1, vcc, s28, v1
	s_cmp_lg_u64 vcc, 0
	s_addc_u32 s21, s21, s29
	v_readfirstlane_b32 s29, v1
	s_mul_i32 s28, s4, s21
	s_mul_hi_u32 s30, s4, s29
	s_add_i32 s28, s30, s28
	s_mul_i32 s5, s5, s29
	s_add_i32 s28, s28, s5
	s_mul_i32 s4, s4, s29
	s_mul_hi_u32 s30, s21, s4
	s_mul_i32 s31, s21, s4
	s_mul_i32 s34, s29, s28
	s_mul_hi_u32 s4, s29, s4
	s_mul_hi_u32 s33, s29, s28
	s_add_u32 s4, s4, s34
	s_addc_u32 s29, 0, s33
	s_add_u32 s4, s4, s31
	s_mul_hi_u32 s5, s21, s28
	s_addc_u32 s4, s29, s30
	s_addc_u32 s5, s5, 0
	s_mul_i32 s28, s21, s28
	s_add_u32 s4, s4, s28
	s_addc_u32 s5, 0, s5
	v_add_co_u32_e32 v1, vcc, s4, v1
	s_cmp_lg_u64 vcc, 0
	s_addc_u32 s21, s21, s5
	s_ashr_i32 s28, s13, 31
	s_add_u32 s4, s12, s28
	s_mov_b32 s29, s28
	s_addc_u32 s5, s13, s28
	s_xor_b64 s[30:31], s[4:5], s[28:29]
	v_readfirstlane_b32 s33, v1
	s_mul_i32 s5, s30, s21
	s_mul_hi_u32 s34, s30, s33
	s_mul_hi_u32 s4, s30, s21
	s_add_u32 s5, s34, s5
	s_addc_u32 s4, 0, s4
	s_mul_hi_u32 s35, s31, s33
	s_mul_i32 s33, s31, s33
	s_add_u32 s5, s5, s33
	s_mul_hi_u32 s34, s31, s21
	s_addc_u32 s4, s4, s35
	s_addc_u32 s5, s34, 0
	s_mul_i32 s21, s31, s21
	s_add_u32 s21, s4, s21
	s_addc_u32 s33, 0, s5
	s_mul_i32 s4, s26, s33
	s_mul_hi_u32 s5, s26, s21
	s_add_i32 s4, s5, s4
	s_mul_i32 s5, s27, s21
	s_add_i32 s34, s4, s5
	s_mul_i32 s5, s26, s21
	v_mov_b32_e32 v1, s5
	s_sub_i32 s4, s31, s34
	v_sub_co_u32_e32 v1, vcc, s30, v1
	s_cmp_lg_u64 vcc, 0
	s_subb_u32 s30, s4, s27
	v_subrev_co_u32_e64 v2, s[4:5], s26, v1
	s_cmp_lg_u64 s[4:5], 0
	s_subb_u32 s4, s30, 0
	s_cmp_ge_u32 s4, s27
	v_readfirstlane_b32 s30, v2
	s_cselect_b32 s5, -1, 0
	s_cmp_ge_u32 s30, s26
	s_cselect_b32 s30, -1, 0
	s_cmp_eq_u32 s4, s27
	s_cselect_b32 s4, s30, s5
	s_add_u32 s5, s21, 1
	s_addc_u32 s30, s33, 0
	s_add_u32 s35, s21, 2
	s_addc_u32 s36, s33, 0
	s_cmp_lg_u32 s4, 0
	s_cselect_b32 s4, s35, s5
	s_cselect_b32 s5, s36, s30
	s_cmp_lg_u64 vcc, 0
	s_subb_u32 s30, s31, s34
	s_cmp_ge_u32 s30, s27
	v_readfirstlane_b32 s34, v1
	s_cselect_b32 s31, -1, 0
	s_cmp_ge_u32 s34, s26
	s_cselect_b32 s26, -1, 0
	s_cmp_eq_u32 s30, s27
	s_cselect_b32 s26, s26, s31
	s_cmp_lg_u32 s26, 0
	s_cselect_b32 s5, s5, s33
	s_cselect_b32 s4, s4, s21
	s_xor_b64 s[24:25], s[28:29], s[24:25]
	s_xor_b64 s[4:5], s[4:5], s[24:25]
	s_sub_u32 s4, s4, s24
	s_subb_u32 s5, s5, s25
	s_cbranch_execnz .LBB1_5
.LBB1_4:
	v_cvt_f32_u32_e32 v1, s14
	s_sub_i32 s4, 0, s14
	s_mov_b32 s5, 0
	v_rcp_iflag_f32_e32 v1, v1
	s_nop 0
	v_mul_f32_e32 v1, 0x4f7ffffe, v1
	v_cvt_u32_f32_e32 v1, v1
	s_nop 0
	v_readfirstlane_b32 s21, v1
	s_mul_i32 s4, s4, s21
	s_mul_hi_u32 s4, s21, s4
	s_add_i32 s21, s21, s4
	s_mul_hi_u32 s4, s12, s21
	s_mul_i32 s22, s4, s14
	s_sub_i32 s22, s12, s22
	s_add_i32 s21, s4, 1
	s_sub_i32 s23, s22, s14
	s_cmp_ge_u32 s22, s14
	s_cselect_b32 s4, s21, s4
	s_cselect_b32 s22, s23, s22
	s_add_i32 s21, s4, 1
	s_cmp_ge_u32 s22, s14
	s_cselect_b32 s4, s21, s4
.LBB1_5:
	s_mul_i32 s21, s4, s15
	s_mul_hi_u32 s22, s4, s14
	s_add_i32 s21, s22, s21
	s_mul_i32 s22, s5, s14
	s_add_i32 s21, s21, s22
	s_mul_i32 s22, s4, s14
	s_sub_u32 s22, s12, s22
	s_subb_u32 s23, s13, s21
	s_abs_i32 s21, s3
	v_cvt_f32_u32_e32 v1, s21
	s_sub_i32 s24, 0, s21
	s_ashr_i32 s33, s3, 31
	s_mul_i32 s28, s8, s2
	v_rcp_iflag_f32_e32 v1, v1
	s_mul_i32 s30, s20, s4
	s_mul_i32 s31, s7, s14
	s_mul_hi_u32 s34, s31, s30
	v_mul_f32_e32 v1, 0x4f7ffffe, v1
	v_cvt_u32_f32_e32 v1, v1
	v_mul_lo_u32 v2, s24, v1
	v_mul_hi_u32 v2, v1, v2
	v_add_u32_e32 v1, v1, v2
	v_mul_hi_u32 v1, v0, v1
	v_mul_lo_u32 v2, v1, s21
	v_sub_u32_e32 v2, v0, v2
	v_add_u32_e32 v3, 1, v1
	v_cmp_le_u32_e32 vcc, s21, v2
	s_mul_hi_u32 s24, s8, s2
	s_nop 0
	v_cndmask_b32_e32 v1, v1, v3, vcc
	v_subrev_u32_e32 v3, s21, v2
	v_cndmask_b32_e32 v2, v2, v3, vcc
	v_add_u32_e32 v3, 1, v1
	v_cmp_le_u32_e32 vcc, s21, v2
	s_ashr_i32 s21, s8, 31
	s_mul_i32 s21, s21, s2
	v_cndmask_b32_e32 v1, v1, v3, vcc
	v_xor_b32_e32 v1, s33, v1
	v_subrev_u32_e32 v1, s33, v1
	s_add_i32 s29, s24, s21
	v_mul_lo_u32 v6, v1, s3
	s_lshl_b64 s[26:27], s[28:29], 2
	v_sub_u32_e32 v10, v0, v6
	s_waitcnt lgkmcnt(0)
	s_add_u32 s24, s16, s26
	v_mul_lo_u32 v0, v1, s11
	s_mul_hi_i32 s21, s3, s10
	s_mul_i32 s8, s20, s5
	s_mul_hi_u32 s11, s20, s4
	s_addc_u32 s25, s17, s27
	v_ashrrev_i32_e32 v1, 31, v0
	s_add_i32 s8, s11, s8
	s_mul_i32 s11, s21, s4
	v_lshl_add_u64 v[4:5], v[0:1], 2, s[24:25]
	s_add_i32 s24, s8, s11
	s_mul_hi_i32 s25, s7, s14
	s_mul_i32 s24, s31, s24
	s_add_i32 s24, s34, s24
	s_mul_i32 s25, s25, s30
	v_mul_lo_u32 v2, v10, s7
	s_add_i32 s25, s24, s25
	s_mul_i32 s24, s31, s30
	v_ashrrev_i32_e32 v3, 31, v2
	s_ashr_i32 s11, s7, 31
	s_lshl_b64 s[24:25], s[24:25], 2
	s_mul_i32 s34, s7, s6
	v_lshl_add_u64 v[8:9], v[2:3], 2, v[4:5]
	s_add_u32 s30, s18, s24
	v_mul_lo_u32 v4, s34, v6
	s_addc_u32 s31, s19, s25
	v_ashrrev_i32_e32 v5, 31, v4
	v_lshl_add_u64 v[6:7], v[4:5], 2, s[30:31]
	v_mul_lo_u32 v10, s34, v10
	s_mul_i32 s30, s22, s11
	s_mul_hi_u32 s31, s22, s7
	v_ashrrev_i32_e32 v11, 31, v10
	s_add_i32 s30, s31, s30
	s_mul_i32 s31, s23, s7
	v_lshl_add_u64 v[6:7], v[10:11], 2, v[6:7]
	s_add_i32 s31, s30, s31
	s_mul_i32 s30, s22, s7
	v_lshl_add_u64 v[12:13], s[30:31], 2, v[6:7]
	s_and_b32 s30, s7, 3
	v_and_b32_e32 v10, 15, v8
	v_mov_b32_e32 v11, 0
	s_cmp_lg_u32 s30, 0
	v_mul_lo_u32 v6, v2, s6
	v_cmp_ne_u64_e32 vcc, 0, v[10:11]
	s_cselect_b64 s[30:31], -1, 0
	s_mov_b32 s8, s7
	v_ashrrev_i32_e32 v7, 31, v6
	s_or_b64 s[30:31], s[30:31], vcc
	s_and_saveexec_b64 s[34:35], s[30:31]
	s_xor_b64 s[30:31], exec, s[34:35]
	s_cbranch_execz .LBB1_21
; %bb.6:
	v_sub_u32_e32 v10, 0, v8
	v_bfe_u32 v10, v10, 2, 2
	v_min_i32_e32 v10, s7, v10
	v_cmp_lt_i32_e32 vcc, 0, v10
	s_and_saveexec_b64 s[34:35], vcc
	s_cbranch_execz .LBB1_9
; %bb.7:
	s_lshl_b64 s[36:37], s[20:21], 2
	s_add_u32 s36, s36, -4
	s_addc_u32 s37, s37, -1
	s_mul_i32 s37, s4, s37
	s_mul_hi_u32 s38, s4, s36
	s_add_i32 s37, s38, s37
	s_mul_i32 s38, s5, s36
	s_mul_i32 s36, s4, s36
	s_add_i32 s37, s37, s38
	s_mul_i32 s38, s36, s15
	s_mul_hi_u32 s39, s36, s14
	s_add_i32 s38, s39, s38
	s_mul_i32 s37, s37, s14
	s_add_i32 s38, s38, s37
	s_mul_i32 s39, s36, s14
	s_lshl_b64 s[36:37], s[12:13], 2
	s_add_u32 s36, s39, s36
	s_addc_u32 s37, s38, s37
	v_lshlrev_b64 v[14:15], 2, v[4:5]
	s_mul_i32 s37, s37, s8
	s_mul_i32 s38, s36, s11
	v_mov_b32_e32 v11, s8
	s_add_i32 s38, s38, s37
	v_mad_u64_u32 v[14:15], s[36:37], s36, v11, v[14:15]
	v_add_u32_e32 v15, s38, v15
	v_lshl_add_u64 v[14:15], v[6:7], 2, v[14:15]
	v_lshl_add_u64 v[14:15], s[18:19], 0, v[14:15]
	s_mov_b64 s[36:37], 0
	v_mov_b32_e32 v11, v10
	v_mov_b64_e32 v[16:17], v[8:9]
.LBB1_8:                                ; =>This Inner Loop Header: Depth=1
	global_load_dword v18, v[16:17], off
	v_add_u32_e32 v11, -1, v11
	v_cmp_eq_u32_e32 vcc, 0, v11
	v_lshl_add_u64 v[16:17], v[16:17], 0, 4
	s_or_b64 s[36:37], vcc, s[36:37]
	s_waitcnt vmcnt(0)
	global_store_dword v[14:15], v18, off
	v_lshl_add_u64 v[14:15], v[14:15], 0, 4
	s_andn2_b64 exec, exec, s[36:37]
	s_cbranch_execnz .LBB1_8
.LBB1_9:
	s_or_b64 exec, exec, s[34:35]
	v_sub_u32_e32 v20, s7, v10
	v_ashrrev_i32_e32 v14, 31, v20
	v_lshrrev_b32_e32 v14, 30, v14
	v_add_u32_e32 v14, v20, v14
	v_ashrrev_i32_e32 v11, 31, v10
	v_ashrrev_i32_e32 v21, 2, v14
	v_cmp_lt_i32_e32 vcc, 3, v20
	s_and_saveexec_b64 s[34:35], vcc
	s_cbranch_execz .LBB1_12
; %bb.10:
	s_lshl_b64 s[36:37], s[20:21], 2
	s_add_u32 s36, s36, -4
	s_addc_u32 s37, s37, -1
	s_mul_i32 s37, s4, s37
	s_mul_hi_u32 s38, s4, s36
	s_add_i32 s37, s38, s37
	s_mul_i32 s38, s5, s36
	s_mul_i32 s36, s4, s36
	s_add_i32 s37, s37, s38
	s_mul_i32 s38, s36, s15
	s_mul_hi_u32 s39, s36, s14
	s_add_i32 s38, s39, s38
	s_mul_i32 s37, s37, s14
	s_add_i32 s38, s38, s37
	s_mul_i32 s39, s36, s14
	s_lshl_b64 s[36:37], s[12:13], 2
	s_add_u32 s36, s39, s36
	s_addc_u32 s37, s38, s37
	v_lshlrev_b64 v[16:17], 2, v[4:5]
	s_mul_i32 s37, s37, s8
	s_mul_i32 s38, s36, s11
	v_mov_b32_e32 v18, s8
	s_add_i32 s38, s38, s37
	v_mad_u64_u32 v[16:17], s[36:37], s36, v18, v[16:17]
	v_add_u32_e32 v17, s38, v17
	v_lshl_add_u64 v[16:17], v[6:7], 2, v[16:17]
	v_lshlrev_b64 v[14:15], 2, v[10:11]
	v_lshl_add_u64 v[16:17], s[18:19], 0, v[16:17]
	s_mov_b64 s[36:37], 0
	v_mov_b64_e32 v[18:19], v[8:9]
	v_mov_b32_e32 v22, v21
.LBB1_11:                               ; =>This Inner Loop Header: Depth=1
	v_lshl_add_u64 v[24:25], v[18:19], 0, v[14:15]
	global_load_dwordx4 v[24:27], v[24:25], off
	v_add_u32_e32 v22, -1, v22
	v_cmp_eq_u32_e32 vcc, 0, v22
	v_lshl_add_u64 v[28:29], v[16:17], 0, v[14:15]
	v_lshl_add_u64 v[16:17], v[16:17], 0, 16
	;; [unrolled: 1-line block ×3, first 2 shown]
	s_or_b64 s[36:37], vcc, s[36:37]
	s_waitcnt vmcnt(0)
	global_store_dwordx4 v[28:29], v[24:27], off
	s_andn2_b64 exec, exec, s[36:37]
	s_cbranch_execnz .LBB1_11
.LBB1_12:
	s_or_b64 exec, exec, s[34:35]
	v_lshlrev_b32_e32 v14, 2, v21
	v_cmp_lt_i32_e32 vcc, v14, v20
	s_and_saveexec_b64 s[34:35], vcc
	s_cbranch_execz .LBB1_20
; %bb.13:
	v_add_u32_e32 v15, v10, v14
	v_sub_u32_e32 v15, s7, v15
	v_cmp_lt_u32_e32 vcc, 15, v15
	s_mov_b64 s[38:39], -1
	s_and_saveexec_b64 s[36:37], vcc
	s_cbranch_execz .LBB1_17
; %bb.14:
	v_lshlrev_b64 v[16:17], 2, v[10:11]
	v_and_b32_e32 v18, -16, v15
	v_lshl_add_u64 v[8:9], v[8:9], 0, v[16:17]
	v_lshl_add_u64 v[12:13], v[12:13], 0, v[16:17]
	s_mov_b64 s[38:39], 0
	v_mov_b32_e32 v16, v14
	v_mov_b32_e32 v19, v18
.LBB1_15:                               ; =>This Inner Loop Header: Depth=1
	v_ashrrev_i32_e32 v17, 31, v16
	v_lshlrev_b64 v[38:39], 2, v[16:17]
	v_lshl_add_u64 v[40:41], v[8:9], 0, v[38:39]
	global_load_dwordx4 v[22:25], v[40:41], off
	global_load_dwordx4 v[26:29], v[40:41], off offset:16
	global_load_dwordx4 v[30:33], v[40:41], off offset:32
	;; [unrolled: 1-line block ×3, first 2 shown]
	v_add_u32_e32 v19, -16, v19
	v_cmp_eq_u32_e32 vcc, 0, v19
	v_lshl_add_u64 v[38:39], v[12:13], 0, v[38:39]
	s_or_b64 s[38:39], vcc, s[38:39]
	v_add_u32_e32 v16, 16, v16
	s_waitcnt vmcnt(3)
	global_store_dwordx2 v[38:39], v[22:23], off
	v_mov_b32_e32 v22, v24
	v_mov_b32_e32 v23, v25
	s_waitcnt vmcnt(3)
	v_mov_b32_e32 v24, v26
	v_mov_b32_e32 v25, v27
	v_mov_b32_e32 v26, v28
	v_mov_b32_e32 v27, v29
	s_waitcnt vmcnt(2)
	v_mov_b32_e32 v28, v30
	v_mov_b32_e32 v29, v31
	;; [unrolled: 5-line block ×3, first 2 shown]
	global_store_dwordx2 v[38:39], v[36:37], off offset:56
	global_store_dwordx4 v[38:39], v[22:25], off offset:8
	global_store_dwordx4 v[38:39], v[26:29], off offset:24
	;; [unrolled: 1-line block ×3, first 2 shown]
	s_andn2_b64 exec, exec, s[38:39]
	s_cbranch_execnz .LBB1_15
; %bb.16:
	s_or_b64 exec, exec, s[38:39]
	v_cmp_ne_u32_e32 vcc, v15, v18
	v_add_u32_e32 v14, v14, v18
	s_orn2_b64 s[38:39], vcc, exec
.LBB1_17:
	s_or_b64 exec, exec, s[36:37]
	s_and_b64 exec, exec, s[38:39]
	s_cbranch_execz .LBB1_20
; %bb.18:
	v_lshlrev_b64 v[10:11], 2, v[10:11]
	v_lshl_add_u64 v[8:9], s[28:29], 2, v[10:11]
	s_lshl_b64 s[28:29], s[20:21], 2
	s_add_u32 s28, s28, -4
	s_addc_u32 s29, s29, -1
	s_mul_i32 s29, s4, s29
	s_mul_hi_u32 s36, s4, s28
	s_add_i32 s29, s36, s29
	s_mul_i32 s36, s5, s28
	s_mul_i32 s28, s4, s28
	s_add_i32 s29, s29, s36
	s_mul_i32 s36, s28, s15
	s_mul_hi_u32 s37, s28, s14
	s_add_i32 s36, s37, s36
	s_mul_i32 s29, s29, s14
	s_add_i32 s36, s36, s29
	s_mul_i32 s37, s28, s14
	s_lshl_b64 s[28:29], s[12:13], 2
	s_add_u32 s28, s37, s28
	v_ashrrev_i32_e32 v15, 31, v14
	s_addc_u32 s29, s36, s29
	v_lshlrev_b64 v[12:13], 2, v[14:15]
	s_mul_i32 s29, s29, s8
	s_mul_i32 s36, s28, s11
	v_mov_b32_e32 v15, s8
	s_add_i32 s36, s36, s29
	v_mad_u64_u32 v[10:11], s[28:29], s28, v15, v[10:11]
	v_add_u32_e32 v11, s36, v11
	v_lshl_add_u64 v[8:9], v[8:9], 0, v[12:13]
	v_lshl_add_u64 v[10:11], v[10:11], 0, v[12:13]
	;; [unrolled: 1-line block ×8, first 2 shown]
	s_mov_b64 s[28:29], 0
.LBB1_19:                               ; =>This Inner Loop Header: Depth=1
	global_load_dword v12, v[8:9], off
	v_add_u32_e32 v14, 1, v14
	v_cmp_ge_i32_e32 vcc, v14, v20
	v_lshl_add_u64 v[8:9], v[8:9], 0, 4
	s_or_b64 s[28:29], vcc, s[28:29]
	s_waitcnt vmcnt(0)
	global_store_dword v[10:11], v12, off
	v_lshl_add_u64 v[10:11], v[10:11], 0, 4
	s_andn2_b64 exec, exec, s[28:29]
	s_cbranch_execnz .LBB1_19
.LBB1_20:
	s_or_b64 exec, exec, s[34:35]
                                        ; implicit-def: $vgpr8_vgpr9
                                        ; implicit-def: $vgpr12_vgpr13
.LBB1_21:
	s_andn2_saveexec_b64 s[28:29], s[30:31]
	s_cbranch_execz .LBB1_32
; %bb.22:
	s_ashr_i32 s31, s7, 2
	s_cmp_lt_i32 s31, 1
	s_cbranch_scc1 .LBB1_32
; %bb.23:
	s_cmp_eq_u32 s7, 4
	s_cbranch_scc1 .LBB1_28
; %bb.24:
	s_and_b32 s30, s31, 0x7ffffffe
	s_mov_b32 s37, 0
	s_mov_b32 s34, 1
	;; [unrolled: 1-line block ×4, first 2 shown]
.LBB1_25:                               ; =>This Inner Loop Header: Depth=1
	s_lshl_b64 s[40:41], s[36:37], 4
	s_mov_b32 s35, s37
	v_lshl_add_u64 v[10:11], v[8:9], 0, s[40:41]
	s_lshl_b64 s[42:43], s[34:35], 4
	v_lshl_add_u64 v[22:23], v[8:9], 0, s[42:43]
	global_load_dwordx4 v[14:17], v[10:11], off
	global_load_dwordx4 v[18:21], v[22:23], off
	s_add_i32 s36, s36, 2
	s_add_i32 s38, s38, -2
	s_add_i32 s34, s34, 2
	v_lshl_add_u64 v[10:11], v[12:13], 0, s[40:41]
	s_cmp_lg_u32 s38, 0
	v_lshl_add_u64 v[22:23], v[12:13], 0, s[42:43]
	s_waitcnt vmcnt(1)
	global_store_dwordx4 v[10:11], v[14:17], off
	s_waitcnt vmcnt(1)
	global_store_dwordx4 v[22:23], v[18:21], off
	s_cbranch_scc1 .LBB1_25
; %bb.26:
	s_cmp_lg_u32 s31, s30
	s_cselect_b64 s[34:35], -1, 0
	s_branch .LBB1_29
.LBB1_27:
                                        ; implicit-def: $sgpr4_sgpr5
	s_branch .LBB1_4
.LBB1_28:
	s_mov_b64 s[34:35], -1
	s_mov_b32 s30, 0
.LBB1_29:
	s_and_b64 vcc, exec, s[34:35]
	s_cbranch_vccz .LBB1_32
; %bb.30:
	s_sub_i32 s34, s31, s30
	s_lshl_b64 s[20:21], s[20:21], 2
	s_add_u32 s20, s20, -4
	s_addc_u32 s21, s21, -1
	s_mul_i32 s21, s4, s21
	s_mul_hi_u32 s31, s4, s20
	s_add_i32 s21, s31, s21
	s_mul_i32 s31, s5, s20
	s_mul_i32 s20, s4, s20
	s_add_i32 s21, s21, s31
	s_mul_i32 s31, s20, s15
	s_mul_hi_u32 s35, s20, s14
	s_add_i32 s31, s35, s31
	s_mul_i32 s21, s21, s14
	s_add_i32 s31, s31, s21
	s_mul_i32 s35, s20, s14
	s_lshl_b64 s[20:21], s[12:13], 2
	s_add_u32 s20, s35, s20
	s_addc_u32 s21, s31, s21
	s_mul_i32 s11, s20, s11
	s_mul_hi_u32 s31, s20, s8
	s_add_i32 s11, s31, s11
	s_mul_i32 s21, s21, s8
	s_mov_b32 s31, 0
	s_add_i32 s11, s11, s21
	s_mul_i32 s35, s20, s8
	s_lshl_b64 s[20:21], s[30:31], 4
	s_add_u32 s30, s35, s20
	s_addc_u32 s31, s11, s21
	v_lshl_add_u64 v[8:9], v[4:5], 2, s[30:31]
	v_lshl_add_u64 v[8:9], v[6:7], 2, v[8:9]
	;; [unrolled: 1-line block ×3, first 2 shown]
	s_add_u32 s18, s26, s20
	s_addc_u32 s19, s27, s21
	v_lshl_add_u64 v[10:11], v[2:3], 2, s[18:19]
	v_lshl_add_u64 v[10:11], v[0:1], 2, v[10:11]
	;; [unrolled: 1-line block ×5, first 2 shown]
.LBB1_31:                               ; =>This Inner Loop Header: Depth=1
	global_load_dwordx4 v[12:15], v[10:11], off offset:-8
	s_add_i32 s34, s34, -1
	v_lshl_add_u64 v[10:11], v[10:11], 0, 16
	s_cmp_eq_u32 s34, 0
	s_waitcnt vmcnt(0)
	global_store_dwordx4 v[8:9], v[12:15], off offset:-8
	v_lshl_add_u64 v[8:9], v[8:9], 0, 16
	s_cbranch_scc0 .LBB1_31
.LBB1_32:
	s_or_b64 exec, exec, s[28:29]
	s_cmp_lt_i32 s7, 1
	s_cbranch_scc1 .LBB1_44
; %bb.33:
	s_load_dwordx2 s[18:19], s[0:1], 0x18
	s_load_dwordx2 s[16:17], s[0:1], 0x8
	s_waitcnt lgkmcnt(0)
	s_add_u32 s0, s18, s24
	s_addc_u32 s1, s19, s25
	s_ashr_i32 s11, s9, 31
	s_cmp_eq_u32 s7, 1
	v_lshl_add_u64 v[8:9], v[4:5], 2, s[0:1]
	s_cselect_b64 s[0:1], -1, 0
	s_cmp_lg_u32 s6, 1
	s_cselect_b64 s[20:21], -1, 0
	v_lshl_add_u64 v[8:9], v[6:7], 2, v[8:9]
	s_or_b64 s[0:1], s[0:1], s[20:21]
	v_lshl_add_u64 v[8:9], s[22:23], 2, v[8:9]
	s_and_b64 vcc, exec, s[0:1]
	s_cbranch_vccnz .LBB1_41
; %bb.34:
	s_add_i32 s0, s7, -2
	s_lshr_b32 s20, s0, 1
	s_add_i32 s20, s20, 1
	s_cmp_lt_u32 s0, 14
	s_mov_b32 s0, 0
	s_cbranch_scc1 .LBB1_37
; %bb.35:
	s_mul_i32 s0, s11, s2
	s_mul_hi_u32 s1, s9, s2
	s_add_i32 s1, s1, s0
	s_mul_i32 s0, s9, s2
	v_lshlrev_b64 v[10:11], 2, v[2:3]
	v_lshl_add_u64 v[10:11], s[0:1], 2, v[10:11]
	v_lshl_add_u64 v[10:11], v[0:1], 2, v[10:11]
	;; [unrolled: 1-line block ×3, first 2 shown]
	s_and_b32 s21, s20, -8
	v_lshl_add_u64 v[10:11], v[10:11], 0, 56
	s_mov_b32 s0, 0
.LBB1_36:                               ; =>This Inner Loop Header: Depth=1
	global_load_dwordx4 v[12:15], v[10:11], off offset:-56
	global_load_dwordx4 v[16:19], v[10:11], off offset:-40
	;; [unrolled: 1-line block ×4, first 2 shown]
	s_ashr_i32 s1, s0, 31
	s_add_i32 s21, s21, -8
	v_lshl_add_u64 v[28:29], s[0:1], 2, v[8:9]
	s_add_i32 s0, s0, 16
	v_lshl_add_u64 v[10:11], v[10:11], 0, 64
	s_cmp_lg_u32 s21, 0
	s_waitcnt vmcnt(3)
	global_store_dwordx4 v[28:29], v[12:15], off
	s_waitcnt vmcnt(3)
	global_store_dwordx4 v[28:29], v[16:19], off offset:16
	s_waitcnt vmcnt(3)
	global_store_dwordx4 v[28:29], v[20:23], off offset:32
	;; [unrolled: 2-line block ×3, first 2 shown]
	s_cbranch_scc1 .LBB1_36
.LBB1_37:
	s_and_b32 s20, s20, 7
	s_cmp_eq_u32 s20, 0
	s_mov_b32 s1, 0
	s_cbranch_scc1 .LBB1_40
; %bb.38:
	s_mul_i32 s21, s11, s2
	s_mul_hi_u32 s22, s9, s2
	s_add_i32 s23, s22, s21
	s_mul_i32 s22, s9, s2
	v_lshlrev_b64 v[10:11], 2, v[2:3]
	v_lshl_add_u64 v[10:11], s[22:23], 2, v[10:11]
	s_lshl_b64 s[22:23], s[0:1], 2
	s_mul_hi_i32 s1, s8, s10
	s_mul_i32 s8, s8, s10
	s_add_u32 s22, s16, s22
	s_mul_i32 s10, s8, s33
	s_mul_hi_u32 s21, s8, s3
	v_lshl_add_u64 v[10:11], v[0:1], 2, v[10:11]
	s_addc_u32 s23, s17, s23
	s_add_i32 s10, s21, s10
	s_mul_i32 s1, s1, s3
	v_lshl_add_u64 v[10:11], s[22:23], 0, v[10:11]
	s_add_i32 s23, s10, s1
	s_mul_i32 s22, s8, s3
	s_lshl_b64 s[22:23], s[22:23], 2
	s_add_u32 s1, s22, -4
	s_addc_u32 s3, s23, -1
	s_mul_i32 s3, s4, s3
	s_mul_hi_u32 s8, s4, s1
	s_add_i32 s3, s8, s3
	s_mul_i32 s5, s5, s1
	s_mul_i32 s1, s4, s1
	s_add_i32 s3, s3, s5
	s_mul_i32 s4, s1, s15
	s_mul_hi_u32 s5, s1, s14
	s_add_i32 s4, s5, s4
	s_mul_i32 s3, s3, s14
	s_add_i32 s3, s4, s3
	s_mul_i32 s1, s1, s14
	s_lshl_b64 s[4:5], s[12:13], 2
	s_add_u32 s4, s1, s4
	s_addc_u32 s3, s3, s5
	s_ashr_i32 s1, s0, 31
	s_lshl_b64 s[0:1], s[0:1], 2
	s_add_u32 s0, s4, s0
	s_addc_u32 s1, s3, s1
	v_lshl_add_u64 v[4:5], v[4:5], 2, s[0:1]
	v_lshl_add_u64 v[4:5], v[6:7], 2, v[4:5]
	;; [unrolled: 1-line block ×3, first 2 shown]
.LBB1_39:                               ; =>This Inner Loop Header: Depth=1
	global_load_dwordx2 v[6:7], v[10:11], off
	s_add_i32 s20, s20, -1
	v_lshl_add_u64 v[10:11], v[10:11], 0, 8
	s_cmp_lg_u32 s20, 0
	s_waitcnt vmcnt(0)
	global_store_dwordx2 v[4:5], v[6:7], off
	v_lshl_add_u64 v[4:5], v[4:5], 0, 8
	s_cbranch_scc1 .LBB1_39
.LBB1_40:
	s_and_b32 s4, s7, 0x7ffffffe
	s_cmp_lg_u32 s4, s7
	s_cselect_b64 s[0:1], -1, 0
	s_and_b64 vcc, exec, s[0:1]
	s_cbranch_vccnz .LBB1_42
	s_branch .LBB1_44
.LBB1_41:
	s_mov_b32 s4, 0
	s_cbranch_execz .LBB1_44
.LBB1_42:
	s_mul_i32 s11, s11, s2
	s_mul_hi_u32 s1, s9, s2
	s_mov_b32 s5, 0
	s_sub_i32 s3, s7, s4
	s_mul_i32 s0, s4, s6
	s_add_i32 s11, s1, s11
	s_mul_i32 s10, s9, s2
	v_lshlrev_b64 v[2:3], 2, v[2:3]
	s_lshl_b64 s[4:5], s[4:5], 2
	v_lshl_add_u64 v[2:3], s[10:11], 2, v[2:3]
	s_add_u32 s4, s16, s4
	v_lshl_add_u64 v[0:1], v[0:1], 2, v[2:3]
	s_addc_u32 s5, s17, s5
	v_lshl_add_u64 v[0:1], s[4:5], 0, v[0:1]
.LBB1_43:                               ; =>This Inner Loop Header: Depth=1
	global_load_dword v4, v[0:1], off
	s_ashr_i32 s1, s0, 31
	s_add_i32 s3, s3, -1
	v_lshl_add_u64 v[2:3], s[0:1], 2, v[8:9]
	s_add_i32 s0, s0, s6
	v_lshl_add_u64 v[0:1], v[0:1], 0, 4
	s_cmp_lg_u32 s3, 0
	s_waitcnt vmcnt(0)
	global_store_dword v[2:3], v4, off
	s_cbranch_scc1 .LBB1_43
.LBB1_44:
	s_endpgm
	.section	.rodata,"a",@progbits
	.p2align	6, 0x0
	.amdhsa_kernel _ZN4vllm24reshape_and_cache_kernelIffLNS_18Fp8KVCacheDataTypeE0EEEvPKT_S4_PT0_S6_PKliiiiiiPKfSA_
		.amdhsa_group_segment_fixed_size 0
		.amdhsa_private_segment_fixed_size 0
		.amdhsa_kernarg_size 80
		.amdhsa_user_sgpr_count 2
		.amdhsa_user_sgpr_dispatch_ptr 0
		.amdhsa_user_sgpr_queue_ptr 0
		.amdhsa_user_sgpr_kernarg_segment_ptr 1
		.amdhsa_user_sgpr_dispatch_id 0
		.amdhsa_user_sgpr_kernarg_preload_length 0
		.amdhsa_user_sgpr_kernarg_preload_offset 0
		.amdhsa_user_sgpr_private_segment_size 0
		.amdhsa_uses_dynamic_stack 0
		.amdhsa_enable_private_segment 0
		.amdhsa_system_sgpr_workgroup_id_x 1
		.amdhsa_system_sgpr_workgroup_id_y 0
		.amdhsa_system_sgpr_workgroup_id_z 0
		.amdhsa_system_sgpr_workgroup_info 0
		.amdhsa_system_vgpr_workitem_id 0
		.amdhsa_next_free_vgpr 42
		.amdhsa_next_free_sgpr 44
		.amdhsa_accum_offset 44
		.amdhsa_reserve_vcc 1
		.amdhsa_float_round_mode_32 0
		.amdhsa_float_round_mode_16_64 0
		.amdhsa_float_denorm_mode_32 3
		.amdhsa_float_denorm_mode_16_64 3
		.amdhsa_dx10_clamp 1
		.amdhsa_ieee_mode 1
		.amdhsa_fp16_overflow 0
		.amdhsa_tg_split 0
		.amdhsa_exception_fp_ieee_invalid_op 0
		.amdhsa_exception_fp_denorm_src 0
		.amdhsa_exception_fp_ieee_div_zero 0
		.amdhsa_exception_fp_ieee_overflow 0
		.amdhsa_exception_fp_ieee_underflow 0
		.amdhsa_exception_fp_ieee_inexact 0
		.amdhsa_exception_int_div_zero 0
	.end_amdhsa_kernel
	.section	.text._ZN4vllm24reshape_and_cache_kernelIffLNS_18Fp8KVCacheDataTypeE0EEEvPKT_S4_PT0_S6_PKliiiiiiPKfSA_,"axG",@progbits,_ZN4vllm24reshape_and_cache_kernelIffLNS_18Fp8KVCacheDataTypeE0EEEvPKT_S4_PT0_S6_PKliiiiiiPKfSA_,comdat
.Lfunc_end1:
	.size	_ZN4vllm24reshape_and_cache_kernelIffLNS_18Fp8KVCacheDataTypeE0EEEvPKT_S4_PT0_S6_PKliiiiiiPKfSA_, .Lfunc_end1-_ZN4vllm24reshape_and_cache_kernelIffLNS_18Fp8KVCacheDataTypeE0EEEvPKT_S4_PT0_S6_PKliiiiiiPKfSA_
                                        ; -- End function
	.section	.AMDGPU.csdata,"",@progbits
; Kernel info:
; codeLenInByte = 3524
; NumSgprs: 50
; NumVgprs: 42
; NumAgprs: 0
; TotalNumVgprs: 42
; ScratchSize: 0
; MemoryBound: 0
; FloatMode: 240
; IeeeMode: 1
; LDSByteSize: 0 bytes/workgroup (compile time only)
; SGPRBlocks: 6
; VGPRBlocks: 5
; NumSGPRsForWavesPerEU: 50
; NumVGPRsForWavesPerEU: 42
; AccumOffset: 44
; Occupancy: 8
; WaveLimiterHint : 0
; COMPUTE_PGM_RSRC2:SCRATCH_EN: 0
; COMPUTE_PGM_RSRC2:USER_SGPR: 2
; COMPUTE_PGM_RSRC2:TRAP_HANDLER: 0
; COMPUTE_PGM_RSRC2:TGID_X_EN: 1
; COMPUTE_PGM_RSRC2:TGID_Y_EN: 0
; COMPUTE_PGM_RSRC2:TGID_Z_EN: 0
; COMPUTE_PGM_RSRC2:TIDIG_COMP_CNT: 0
; COMPUTE_PGM_RSRC3_GFX90A:ACCUM_OFFSET: 10
; COMPUTE_PGM_RSRC3_GFX90A:TG_SPLIT: 0
	.section	.text._ZN4vllm24reshape_and_cache_kernelIttLNS_18Fp8KVCacheDataTypeE0EEEvPKT_S4_PT0_S6_PKliiiiiiPKfSA_,"axG",@progbits,_ZN4vllm24reshape_and_cache_kernelIttLNS_18Fp8KVCacheDataTypeE0EEEvPKT_S4_PT0_S6_PKliiiiiiPKfSA_,comdat
	.protected	_ZN4vllm24reshape_and_cache_kernelIttLNS_18Fp8KVCacheDataTypeE0EEEvPKT_S4_PT0_S6_PKliiiiiiPKfSA_ ; -- Begin function _ZN4vllm24reshape_and_cache_kernelIttLNS_18Fp8KVCacheDataTypeE0EEEvPKT_S4_PT0_S6_PKliiiiiiPKfSA_
	.globl	_ZN4vllm24reshape_and_cache_kernelIttLNS_18Fp8KVCacheDataTypeE0EEEvPKT_S4_PT0_S6_PKliiiiiiPKfSA_
	.p2align	8
	.type	_ZN4vllm24reshape_and_cache_kernelIttLNS_18Fp8KVCacheDataTypeE0EEEvPKT_S4_PT0_S6_PKliiiiiiPKfSA_,@function
_ZN4vllm24reshape_and_cache_kernelIttLNS_18Fp8KVCacheDataTypeE0EEEvPKT_S4_PT0_S6_PKliiiiiiPKfSA_: ; @_ZN4vllm24reshape_and_cache_kernelIttLNS_18Fp8KVCacheDataTypeE0EEEvPKT_S4_PT0_S6_PKliiiiiiPKfSA_
; %bb.0:
	s_load_dwordx2 s[4:5], s[0:1], 0x20
	s_mov_b32 s3, 0
	s_lshl_b64 s[6:7], s[2:3], 3
	s_waitcnt lgkmcnt(0)
	s_add_u32 s4, s4, s6
	s_addc_u32 s5, s5, s7
	s_load_dwordx2 s[12:13], s[4:5], 0x0
	s_waitcnt lgkmcnt(0)
	v_cmp_lt_i64_e64 s[4:5], s[12:13], 0
	s_and_b64 vcc, exec, s[4:5]
	s_cbranch_vccnz .LBB2_38
; %bb.1:
	s_load_dwordx2 s[6:7], s[0:1], 0x38
	s_load_dwordx4 s[8:11], s[0:1], 0x28
	s_waitcnt lgkmcnt(0)
	s_abs_i32 s3, s7
	v_cvt_f32_u32_e32 v1, s3
	s_sub_i32 s14, 0, s3
	s_abs_i32 s5, s11
	s_xor_b32 s4, s11, s7
	v_rcp_iflag_f32_e32 v1, v1
	s_ashr_i32 s4, s4, 31
	v_mul_f32_e32 v1, 0x4f7ffffe, v1
	v_cvt_u32_f32_e32 v1, v1
	s_nop 0
	v_readfirstlane_b32 s15, v1
	s_mul_i32 s14, s14, s15
	s_mul_hi_u32 s14, s15, s14
	s_add_i32 s15, s15, s14
	s_mul_hi_u32 s14, s5, s15
	s_mul_i32 s15, s14, s3
	s_sub_i32 s5, s5, s15
	s_add_i32 s16, s14, 1
	s_sub_i32 s15, s5, s3
	s_cmp_ge_u32 s5, s3
	s_cselect_b32 s14, s16, s14
	s_cselect_b32 s5, s15, s5
	s_add_i32 s15, s14, 1
	s_cmp_ge_u32 s5, s3
	s_cselect_b32 s3, s15, s14
	s_xor_b32 s3, s3, s4
	s_sub_i32 s3, s3, s4
	s_mul_i32 s18, s3, s10
	v_cmp_gt_i32_e32 vcc, s18, v0
	s_and_saveexec_b64 s[4:5], vcc
	s_cbranch_execz .LBB2_38
; %bb.2:
	s_load_dwordx2 s[16:17], s[0:1], 0x0
	s_ashr_i32 s15, s6, 31
	s_mov_b32 s14, s6
	s_or_b64 s[4:5], s[12:13], s[14:15]
	s_mov_b32 s4, 0
	s_cmp_lg_u64 s[4:5], 0
	s_cbranch_scc0 .LBB2_34
; %bb.3:
	s_add_u32 s4, s14, s15
	s_mov_b32 s22, s15
	s_mov_b32 s23, s15
	s_addc_u32 s5, s15, s15
	s_xor_b64 s[24:25], s[4:5], s[22:23]
	v_cvt_f32_u32_e32 v1, s24
	v_cvt_f32_u32_e32 v2, s25
	s_sub_u32 s4, 0, s24
	s_subb_u32 s5, 0, s25
	v_fmamk_f32 v1, v2, 0x4f800000, v1
	v_rcp_f32_e32 v1, v1
	s_nop 0
	v_mul_f32_e32 v1, 0x5f7ffffc, v1
	v_mul_f32_e32 v2, 0x2f800000, v1
	v_trunc_f32_e32 v2, v2
	v_fmamk_f32 v1, v2, 0xcf800000, v1
	v_cvt_u32_f32_e32 v2, v2
	v_cvt_u32_f32_e32 v1, v1
	v_readfirstlane_b32 s19, v2
	v_readfirstlane_b32 s26, v1
	s_mul_i32 s27, s4, s19
	s_mul_hi_u32 s29, s4, s26
	s_mul_i32 s28, s5, s26
	s_add_i32 s27, s29, s27
	s_add_i32 s27, s27, s28
	s_mul_i32 s30, s4, s26
	s_mul_hi_u32 s28, s26, s27
	s_mul_i32 s29, s26, s27
	s_mul_hi_u32 s26, s26, s30
	s_add_u32 s26, s26, s29
	s_addc_u32 s28, 0, s28
	s_mul_hi_u32 s31, s19, s30
	s_mul_i32 s30, s19, s30
	s_add_u32 s26, s26, s30
	s_mul_hi_u32 s29, s19, s27
	s_addc_u32 s26, s28, s31
	s_addc_u32 s28, s29, 0
	s_mul_i32 s27, s19, s27
	s_add_u32 s26, s26, s27
	s_addc_u32 s27, 0, s28
	v_add_co_u32_e32 v1, vcc, s26, v1
	s_cmp_lg_u64 vcc, 0
	s_addc_u32 s19, s19, s27
	v_readfirstlane_b32 s27, v1
	s_mul_i32 s26, s4, s19
	s_mul_hi_u32 s28, s4, s27
	s_add_i32 s26, s28, s26
	s_mul_i32 s5, s5, s27
	s_add_i32 s26, s26, s5
	s_mul_i32 s4, s4, s27
	s_mul_hi_u32 s28, s19, s4
	s_mul_i32 s29, s19, s4
	s_mul_i32 s31, s27, s26
	s_mul_hi_u32 s4, s27, s4
	s_mul_hi_u32 s30, s27, s26
	s_add_u32 s4, s4, s31
	s_addc_u32 s27, 0, s30
	s_add_u32 s4, s4, s29
	s_mul_hi_u32 s5, s19, s26
	s_addc_u32 s4, s27, s28
	s_addc_u32 s5, s5, 0
	s_mul_i32 s26, s19, s26
	s_add_u32 s4, s4, s26
	s_addc_u32 s5, 0, s5
	v_add_co_u32_e32 v1, vcc, s4, v1
	s_cmp_lg_u64 vcc, 0
	s_addc_u32 s19, s19, s5
	s_ashr_i32 s26, s13, 31
	s_add_u32 s4, s12, s26
	s_mov_b32 s27, s26
	s_addc_u32 s5, s13, s26
	s_xor_b64 s[28:29], s[4:5], s[26:27]
	v_readfirstlane_b32 s30, v1
	s_mul_i32 s5, s28, s19
	s_mul_hi_u32 s31, s28, s30
	s_mul_hi_u32 s4, s28, s19
	s_add_u32 s5, s31, s5
	s_addc_u32 s4, 0, s4
	s_mul_hi_u32 s33, s29, s30
	s_mul_i32 s30, s29, s30
	s_add_u32 s5, s5, s30
	s_mul_hi_u32 s31, s29, s19
	s_addc_u32 s4, s4, s33
	s_addc_u32 s5, s31, 0
	s_mul_i32 s19, s29, s19
	s_add_u32 s19, s4, s19
	s_addc_u32 s30, 0, s5
	s_mul_i32 s4, s24, s30
	s_mul_hi_u32 s5, s24, s19
	s_add_i32 s4, s5, s4
	s_mul_i32 s5, s25, s19
	s_add_i32 s31, s4, s5
	s_mul_i32 s5, s24, s19
	v_mov_b32_e32 v1, s5
	s_sub_i32 s4, s29, s31
	v_sub_co_u32_e32 v1, vcc, s28, v1
	s_cmp_lg_u64 vcc, 0
	s_subb_u32 s28, s4, s25
	v_subrev_co_u32_e64 v2, s[4:5], s24, v1
	s_cmp_lg_u64 s[4:5], 0
	s_subb_u32 s4, s28, 0
	s_cmp_ge_u32 s4, s25
	v_readfirstlane_b32 s28, v2
	s_cselect_b32 s5, -1, 0
	s_cmp_ge_u32 s28, s24
	s_cselect_b32 s28, -1, 0
	s_cmp_eq_u32 s4, s25
	s_cselect_b32 s4, s28, s5
	s_add_u32 s5, s19, 1
	s_addc_u32 s28, s30, 0
	s_add_u32 s33, s19, 2
	s_addc_u32 s34, s30, 0
	s_cmp_lg_u32 s4, 0
	s_cselect_b32 s4, s33, s5
	s_cselect_b32 s5, s34, s28
	s_cmp_lg_u64 vcc, 0
	s_subb_u32 s28, s29, s31
	s_cmp_ge_u32 s28, s25
	v_readfirstlane_b32 s31, v1
	s_cselect_b32 s29, -1, 0
	s_cmp_ge_u32 s31, s24
	s_cselect_b32 s24, -1, 0
	s_cmp_eq_u32 s28, s25
	s_cselect_b32 s24, s24, s29
	s_cmp_lg_u32 s24, 0
	s_cselect_b32 s5, s5, s30
	s_cselect_b32 s4, s4, s19
	s_xor_b64 s[22:23], s[26:27], s[22:23]
	s_xor_b64 s[4:5], s[4:5], s[22:23]
	s_sub_u32 s4, s4, s22
	s_subb_u32 s5, s5, s23
	s_cbranch_execnz .LBB2_5
.LBB2_4:
	v_cvt_f32_u32_e32 v1, s14
	s_sub_i32 s4, 0, s14
	s_mov_b32 s5, 0
	v_rcp_iflag_f32_e32 v1, v1
	s_nop 0
	v_mul_f32_e32 v1, 0x4f7ffffe, v1
	v_cvt_u32_f32_e32 v1, v1
	s_nop 0
	v_readfirstlane_b32 s19, v1
	s_mul_i32 s4, s4, s19
	s_mul_hi_u32 s4, s19, s4
	s_add_i32 s19, s19, s4
	s_mul_hi_u32 s4, s12, s19
	s_mul_i32 s20, s4, s14
	s_sub_i32 s20, s12, s20
	s_add_i32 s19, s4, 1
	s_sub_i32 s21, s20, s14
	s_cmp_ge_u32 s20, s14
	s_cselect_b32 s4, s19, s4
	s_cselect_b32 s20, s21, s20
	s_add_i32 s19, s4, 1
	s_cmp_ge_u32 s20, s14
	s_cselect_b32 s4, s19, s4
.LBB2_5:
	s_mul_i32 s19, s4, s15
	s_mul_hi_u32 s20, s4, s14
	s_add_i32 s19, s20, s19
	s_mul_i32 s20, s5, s14
	s_add_i32 s19, s19, s20
	s_mul_i32 s20, s4, s14
	s_sub_u32 s20, s12, s20
	s_subb_u32 s21, s13, s19
	s_abs_i32 s19, s3
	v_cvt_f32_u32_e32 v1, s19
	s_sub_i32 s24, 0, s19
	s_ashr_i32 s33, s3, 31
	s_mul_i32 s28, s18, s4
	v_rcp_iflag_f32_e32 v1, v1
	s_mul_i32 s29, s7, s14
	s_mul_hi_u32 s30, s29, s28
	s_load_dwordx2 s[22:23], s[0:1], 0x10
	v_mul_f32_e32 v1, 0x4f7ffffe, v1
	v_cvt_u32_f32_e32 v1, v1
	s_mul_i32 s38, s7, s6
	v_mov_b32_e32 v9, 0
	v_mul_lo_u32 v2, s24, v1
	v_mul_hi_u32 v2, v1, v2
	v_add_u32_e32 v1, v1, v2
	v_mul_hi_u32 v1, v0, v1
	v_mul_lo_u32 v2, v1, s19
	v_sub_u32_e32 v2, v0, v2
	v_add_u32_e32 v3, 1, v1
	v_cmp_le_u32_e32 vcc, s19, v2
	s_mul_hi_u32 s24, s8, s2
	s_nop 0
	v_cndmask_b32_e32 v1, v1, v3, vcc
	v_subrev_u32_e32 v3, s19, v2
	v_cndmask_b32_e32 v2, v2, v3, vcc
	v_add_u32_e32 v3, 1, v1
	v_cmp_le_u32_e32 vcc, s19, v2
	s_ashr_i32 s19, s8, 31
	s_mul_i32 s19, s19, s2
	v_cndmask_b32_e32 v1, v1, v3, vcc
	v_xor_b32_e32 v1, s33, v1
	v_subrev_u32_e32 v1, s33, v1
	s_add_i32 s25, s24, s19
	s_mul_i32 s24, s8, s2
	v_mul_lo_u32 v6, v1, s3
	s_lshl_b64 s[26:27], s[24:25], 1
	v_sub_u32_e32 v19, v0, v6
	s_waitcnt lgkmcnt(0)
	s_add_u32 s26, s16, s26
	v_mul_lo_u32 v0, v1, s11
	s_mul_hi_i32 s19, s3, s10
	s_mul_i32 s8, s18, s5
	s_mul_hi_u32 s11, s18, s4
	s_addc_u32 s27, s17, s27
	v_ashrrev_i32_e32 v1, 31, v0
	s_add_i32 s8, s11, s8
	s_mul_i32 s11, s19, s4
	v_lshl_add_u64 v[4:5], v[0:1], 1, s[26:27]
	s_add_i32 s26, s8, s11
	v_mul_lo_u32 v2, v19, s7
	s_mul_hi_i32 s27, s7, s14
	s_mul_i32 s26, s29, s26
	v_ashrrev_i32_e32 v3, 31, v2
	s_add_i32 s26, s30, s26
	s_mul_i32 s27, s27, s28
	v_lshl_add_u64 v[10:11], v[2:3], 1, v[4:5]
	s_ashr_i32 s11, s7, 31
	s_add_i32 s27, s26, s27
	s_mul_i32 s26, s29, s28
	s_and_b32 s28, s7, 7
	v_and_b32_e32 v8, 15, v10
	s_cmp_lg_u32 s28, 0
	v_mul_lo_u32 v4, s38, v6
	v_mul_lo_u32 v6, v2, s6
	v_cmp_ne_u64_e32 vcc, 0, v[8:9]
	s_cselect_b64 s[28:29], -1, 0
	s_mov_b32 s8, s7
	v_ashrrev_i32_e32 v5, 31, v4
	v_ashrrev_i32_e32 v7, 31, v6
	s_or_b64 s[28:29], s[28:29], vcc
	s_and_saveexec_b64 s[30:31], s[28:29]
	s_xor_b64 s[28:29], exec, s[30:31]
	s_cbranch_execz .LBB2_21
; %bb.6:
	v_sub_u32_e32 v8, 0, v10
	v_bfe_u32 v8, v8, 1, 3
	v_min_i32_e32 v8, s7, v8
	v_cmp_lt_i32_e32 vcc, 0, v8
	s_and_saveexec_b64 s[30:31], vcc
	s_cbranch_execz .LBB2_9
; %bb.7:
	s_lshl_b64 s[34:35], s[18:19], 1
	s_add_u32 s34, s34, -2
	s_addc_u32 s35, s35, -1
	s_mul_i32 s35, s4, s35
	s_mul_hi_u32 s36, s4, s34
	s_add_i32 s35, s36, s35
	s_mul_i32 s36, s5, s34
	s_mul_i32 s34, s4, s34
	s_add_i32 s35, s35, s36
	s_mul_i32 s36, s34, s15
	s_mul_hi_u32 s37, s34, s14
	s_add_i32 s36, s37, s36
	s_mul_i32 s35, s35, s14
	s_add_i32 s36, s36, s35
	s_mul_i32 s37, s34, s14
	s_lshl_b64 s[34:35], s[12:13], 1
	s_add_u32 s34, s37, s34
	s_addc_u32 s35, s36, s35
	v_lshlrev_b64 v[12:13], 1, v[4:5]
	s_mul_i32 s35, s35, s8
	s_mul_i32 s36, s34, s11
	v_mov_b32_e32 v9, s8
	s_add_i32 s36, s36, s35
	v_mad_u64_u32 v[12:13], s[34:35], s34, v9, v[12:13]
	v_add_u32_e32 v13, s36, v13
	v_lshl_add_u64 v[12:13], v[6:7], 1, v[12:13]
	v_lshl_add_u64 v[12:13], s[22:23], 0, v[12:13]
	s_mov_b64 s[34:35], 0
	v_mov_b32_e32 v9, v8
	v_mov_b64_e32 v[14:15], v[10:11]
.LBB2_8:                                ; =>This Inner Loop Header: Depth=1
	global_load_ushort v16, v[14:15], off
	v_add_u32_e32 v9, -1, v9
	v_cmp_eq_u32_e32 vcc, 0, v9
	v_lshl_add_u64 v[14:15], v[14:15], 0, 2
	s_or_b64 s[34:35], vcc, s[34:35]
	s_waitcnt vmcnt(0)
	global_store_short v[12:13], v16, off
	v_lshl_add_u64 v[12:13], v[12:13], 0, 2
	s_andn2_b64 exec, exec, s[34:35]
	s_cbranch_execnz .LBB2_8
.LBB2_9:
	s_or_b64 exec, exec, s[30:31]
	v_sub_u32_e32 v18, s7, v8
	v_ashrrev_i32_e32 v12, 31, v18
	v_lshrrev_b32_e32 v12, 29, v12
	v_add_u32_e32 v12, v18, v12
	v_ashrrev_i32_e32 v9, 31, v8
	v_ashrrev_i32_e32 v20, 3, v12
	v_cmp_lt_i32_e32 vcc, 7, v18
	s_and_saveexec_b64 s[30:31], vcc
	s_cbranch_execz .LBB2_12
; %bb.10:
	s_lshl_b64 s[34:35], s[18:19], 1
	s_add_u32 s34, s34, -2
	s_addc_u32 s35, s35, -1
	s_mul_i32 s35, s4, s35
	s_mul_hi_u32 s36, s4, s34
	s_add_i32 s35, s36, s35
	s_mul_i32 s36, s5, s34
	s_mul_i32 s34, s4, s34
	s_add_i32 s35, s35, s36
	s_mul_i32 s36, s34, s15
	s_mul_hi_u32 s37, s34, s14
	s_add_i32 s36, s37, s36
	s_mul_i32 s35, s35, s14
	s_add_i32 s36, s36, s35
	s_mul_i32 s37, s34, s14
	s_lshl_b64 s[34:35], s[12:13], 1
	s_add_u32 s34, s37, s34
	s_addc_u32 s35, s36, s35
	v_lshlrev_b64 v[14:15], 1, v[4:5]
	s_mul_i32 s35, s35, s8
	s_mul_i32 s36, s34, s11
	v_mov_b32_e32 v16, s8
	s_add_i32 s36, s36, s35
	v_mad_u64_u32 v[14:15], s[34:35], s34, v16, v[14:15]
	v_add_u32_e32 v15, s36, v15
	v_lshl_add_u64 v[14:15], v[6:7], 1, v[14:15]
	v_lshlrev_b64 v[12:13], 1, v[8:9]
	v_lshl_add_u64 v[14:15], s[22:23], 0, v[14:15]
	s_mov_b64 s[34:35], 0
	v_mov_b64_e32 v[16:17], v[10:11]
	v_mov_b32_e32 v21, v20
.LBB2_11:                               ; =>This Inner Loop Header: Depth=1
	v_lshl_add_u64 v[22:23], v[16:17], 0, v[12:13]
	global_load_dwordx4 v[22:25], v[22:23], off
	v_add_u32_e32 v21, -1, v21
	v_cmp_eq_u32_e32 vcc, 0, v21
	v_lshl_add_u64 v[26:27], v[14:15], 0, v[12:13]
	v_lshl_add_u64 v[14:15], v[14:15], 0, 16
	;; [unrolled: 1-line block ×3, first 2 shown]
	s_or_b64 s[34:35], vcc, s[34:35]
	s_waitcnt vmcnt(0)
	global_store_dwordx4 v[26:27], v[22:25], off
	s_andn2_b64 exec, exec, s[34:35]
	s_cbranch_execnz .LBB2_11
.LBB2_12:
	s_or_b64 exec, exec, s[30:31]
	v_lshlrev_b32_e32 v12, 3, v20
	v_cmp_lt_i32_e32 vcc, v12, v18
	s_and_saveexec_b64 s[30:31], vcc
	s_cbranch_execz .LBB2_20
; %bb.13:
	v_add_u32_e32 v13, v8, v12
	v_sub_u32_e32 v13, s7, v13
	v_cmp_lt_u32_e32 vcc, 31, v13
	s_mov_b64 s[36:37], -1
	s_and_saveexec_b64 s[34:35], vcc
	s_cbranch_execz .LBB2_17
; %bb.14:
	s_lshl_b64 s[36:37], s[26:27], 1
	s_add_u32 s36, s22, s36
	s_addc_u32 s37, s23, s37
	v_lshl_add_u64 v[14:15], v[4:5], 1, s[36:37]
	v_mul_lo_u32 v16, s38, v19
	s_mul_i32 s36, s20, s11
	s_mul_hi_u32 s37, s20, s8
	v_ashrrev_i32_e32 v17, 31, v16
	s_add_i32 s36, s37, s36
	s_mul_i32 s37, s21, s8
	v_lshl_add_u64 v[14:15], v[16:17], 1, v[14:15]
	s_add_i32 s37, s36, s37
	s_mul_i32 s36, s20, s8
	v_lshl_add_u64 v[14:15], s[36:37], 1, v[14:15]
	v_lshlrev_b64 v[16:17], 1, v[8:9]
	v_and_b32_e32 v19, 0xffffffe0, v13
	v_lshl_add_u64 v[10:11], v[10:11], 0, v[16:17]
	v_lshl_add_u64 v[14:15], v[14:15], 0, v[16:17]
	s_mov_b64 s[36:37], 0
	v_mov_b32_e32 v16, v12
	v_mov_b32_e32 v20, v19
.LBB2_15:                               ; =>This Inner Loop Header: Depth=1
	v_ashrrev_i32_e32 v17, 31, v16
	v_lshlrev_b64 v[38:39], 1, v[16:17]
	v_lshl_add_u64 v[40:41], v[10:11], 0, v[38:39]
	global_load_dwordx4 v[22:25], v[40:41], off
	global_load_dwordx4 v[26:29], v[40:41], off offset:16
	global_load_dwordx4 v[30:33], v[40:41], off offset:32
	;; [unrolled: 1-line block ×3, first 2 shown]
	v_subrev_u32_e32 v20, 32, v20
	v_cmp_eq_u32_e32 vcc, 0, v20
	v_lshl_add_u64 v[38:39], v[14:15], 0, v[38:39]
	s_or_b64 s[36:37], vcc, s[36:37]
	v_add_u32_e32 v16, 32, v16
	s_waitcnt vmcnt(3)
	global_store_dwordx2 v[38:39], v[22:23], off
	v_mov_b32_e32 v22, v24
	v_mov_b32_e32 v23, v25
	s_waitcnt vmcnt(3)
	v_mov_b32_e32 v24, v26
	v_mov_b32_e32 v25, v27
	v_mov_b32_e32 v26, v28
	v_mov_b32_e32 v27, v29
	s_waitcnt vmcnt(2)
	v_mov_b32_e32 v28, v30
	v_mov_b32_e32 v29, v31
	;; [unrolled: 5-line block ×3, first 2 shown]
	global_store_dwordx2 v[38:39], v[36:37], off offset:56
	global_store_dwordx4 v[38:39], v[22:25], off offset:8
	global_store_dwordx4 v[38:39], v[26:29], off offset:24
	;; [unrolled: 1-line block ×3, first 2 shown]
	s_andn2_b64 exec, exec, s[36:37]
	s_cbranch_execnz .LBB2_15
; %bb.16:
	s_or_b64 exec, exec, s[36:37]
	v_cmp_ne_u32_e32 vcc, v13, v19
	v_add_u32_e32 v12, v12, v19
	s_orn2_b64 s[36:37], vcc, exec
.LBB2_17:
	s_or_b64 exec, exec, s[34:35]
	s_and_b64 exec, exec, s[36:37]
	s_cbranch_execz .LBB2_20
; %bb.18:
	s_lshl_b64 s[34:35], s[18:19], 1
	s_add_u32 s34, s34, -2
	s_addc_u32 s35, s35, -1
	s_mul_i32 s35, s4, s35
	s_mul_hi_u32 s36, s4, s34
	s_add_i32 s35, s36, s35
	s_mul_i32 s36, s5, s34
	s_mul_i32 s34, s4, s34
	s_add_i32 s35, s35, s36
	s_mul_i32 s36, s34, s15
	s_mul_hi_u32 s37, s34, s14
	s_add_i32 s36, s37, s36
	s_mul_i32 s35, s35, s14
	s_add_i32 s36, s36, s35
	s_mul_i32 s37, s34, s14
	s_lshl_b64 s[34:35], s[12:13], 1
	s_add_u32 s34, s37, s34
	v_ashrrev_i32_e32 v13, 31, v12
	s_addc_u32 s35, s36, s35
	v_lshlrev_b64 v[10:11], 1, v[8:9]
	v_lshlrev_b64 v[14:15], 1, v[12:13]
	s_mul_i32 s35, s35, s8
	s_mul_i32 s36, s34, s11
	v_mov_b32_e32 v13, s8
	v_lshl_add_u64 v[8:9], s[24:25], 1, v[10:11]
	s_add_i32 s36, s36, s35
	v_mad_u64_u32 v[10:11], s[34:35], s34, v13, v[10:11]
	v_add_u32_e32 v11, s36, v11
	v_lshl_add_u64 v[8:9], v[8:9], 0, v[14:15]
	v_lshl_add_u64 v[10:11], v[10:11], 0, v[14:15]
	v_lshl_add_u64 v[8:9], v[2:3], 1, v[8:9]
	v_lshl_add_u64 v[10:11], v[4:5], 1, v[10:11]
	v_lshl_add_u64 v[8:9], v[0:1], 1, v[8:9]
	v_lshl_add_u64 v[10:11], v[6:7], 1, v[10:11]
	v_lshl_add_u64 v[8:9], s[16:17], 0, v[8:9]
	v_lshl_add_u64 v[10:11], s[22:23], 0, v[10:11]
	s_mov_b64 s[34:35], 0
.LBB2_19:                               ; =>This Inner Loop Header: Depth=1
	global_load_ushort v13, v[8:9], off
	v_add_u32_e32 v12, 1, v12
	v_cmp_ge_i32_e32 vcc, v12, v18
	v_lshl_add_u64 v[8:9], v[8:9], 0, 2
	s_or_b64 s[34:35], vcc, s[34:35]
	s_waitcnt vmcnt(0)
	global_store_short v[10:11], v13, off
	v_lshl_add_u64 v[10:11], v[10:11], 0, 2
	s_andn2_b64 exec, exec, s[34:35]
	s_cbranch_execnz .LBB2_19
.LBB2_20:
	s_or_b64 exec, exec, s[30:31]
.LBB2_21:
	s_andn2_saveexec_b64 s[28:29], s[28:29]
	s_cbranch_execz .LBB2_25
; %bb.22:
	s_ashr_i32 s30, s7, 3
	s_cmp_lt_i32 s30, 1
	s_cbranch_scc1 .LBB2_25
; %bb.23:
	s_lshl_b64 s[18:19], s[18:19], 1
	s_add_u32 s18, s18, -2
	s_addc_u32 s19, s19, -1
	s_mul_i32 s19, s4, s19
	s_mul_hi_u32 s31, s4, s18
	s_add_i32 s19, s31, s19
	s_mul_i32 s31, s5, s18
	s_mul_i32 s18, s4, s18
	s_add_i32 s19, s19, s31
	s_mul_i32 s31, s18, s15
	s_mul_hi_u32 s34, s18, s14
	s_add_i32 s31, s34, s31
	s_mul_i32 s19, s19, s14
	s_add_i32 s31, s31, s19
	s_mul_i32 s34, s18, s14
	s_lshl_b64 s[18:19], s[12:13], 1
	s_add_u32 s18, s34, s18
	s_addc_u32 s19, s31, s19
	v_lshlrev_b64 v[8:9], 1, v[4:5]
	s_mul_i32 s19, s19, s8
	s_mul_i32 s11, s18, s11
	v_mov_b32_e32 v10, s8
	s_add_i32 s11, s11, s19
	v_mad_u64_u32 v[8:9], s[18:19], s18, v10, v[8:9]
	v_lshlrev_b64 v[10:11], 1, v[2:3]
	v_add_u32_e32 v9, s11, v9
	v_lshl_add_u64 v[10:11], s[24:25], 1, v[10:11]
	v_lshl_add_u64 v[8:9], v[6:7], 1, v[8:9]
	;; [unrolled: 1-line block ×7, first 2 shown]
.LBB2_24:                               ; =>This Inner Loop Header: Depth=1
	global_load_dwordx4 v[12:15], v[10:11], off offset:-8
	s_add_i32 s30, s30, -1
	v_lshl_add_u64 v[10:11], v[10:11], 0, 16
	s_cmp_eq_u32 s30, 0
	s_waitcnt vmcnt(0)
	global_store_dwordx4 v[8:9], v[12:15], off offset:-8
	v_lshl_add_u64 v[8:9], v[8:9], 0, 16
	s_cbranch_scc0 .LBB2_24
.LBB2_25:
	s_or_b64 exec, exec, s[28:29]
	s_cmp_lt_i32 s7, 1
	s_cbranch_scc1 .LBB2_38
; %bb.26:
	s_load_dwordx2 s[18:19], s[0:1], 0x18
	s_load_dwordx2 s[16:17], s[0:1], 0x8
	s_lshl_b64 s[0:1], s[26:27], 1
	s_waitcnt lgkmcnt(0)
	s_add_u32 s0, s18, s0
	s_addc_u32 s1, s19, s1
	s_ashr_i32 s11, s9, 31
	v_lshl_add_u64 v[8:9], v[4:5], 1, s[0:1]
	s_cmp_lt_u32 s7, 4
	v_lshl_add_u64 v[8:9], v[6:7], 1, v[8:9]
	s_cselect_b64 s[0:1], -1, 0
	s_cmp_lg_u32 s6, 1
	v_lshl_add_u64 v[8:9], s[20:21], 1, v[8:9]
	s_cselect_b64 s[20:21], -1, 0
	s_or_b64 s[0:1], s[0:1], s[20:21]
	s_and_b64 vcc, exec, s[0:1]
	s_cbranch_vccnz .LBB2_35
; %bb.27:
	s_add_i32 s0, s7, -4
	s_lshr_b32 s20, s0, 2
	s_add_i32 s20, s20, 1
	s_cmp_lt_u32 s0, 28
	s_mov_b32 s0, 0
	s_cbranch_scc1 .LBB2_30
; %bb.28:
	s_mul_i32 s0, s11, s2
	s_mul_hi_u32 s1, s9, s2
	s_add_i32 s1, s1, s0
	s_mul_i32 s0, s9, s2
	v_lshlrev_b64 v[10:11], 1, v[2:3]
	v_lshl_add_u64 v[10:11], s[0:1], 1, v[10:11]
	v_lshl_add_u64 v[10:11], v[0:1], 1, v[10:11]
	;; [unrolled: 1-line block ×3, first 2 shown]
	s_and_b32 s21, s20, 0x7ffffff8
	v_lshl_add_u64 v[10:11], v[10:11], 0, 56
	s_mov_b32 s0, 0
.LBB2_29:                               ; =>This Inner Loop Header: Depth=1
	global_load_dwordx4 v[12:15], v[10:11], off offset:-56
	global_load_dwordx4 v[16:19], v[10:11], off offset:-40
	;; [unrolled: 1-line block ×4, first 2 shown]
	s_ashr_i32 s1, s0, 31
	s_add_i32 s21, s21, -8
	v_lshl_add_u64 v[28:29], s[0:1], 1, v[8:9]
	s_add_i32 s0, s0, 32
	v_lshl_add_u64 v[10:11], v[10:11], 0, 64
	s_cmp_lg_u32 s21, 0
	s_waitcnt vmcnt(3)
	global_store_dwordx4 v[28:29], v[12:15], off
	s_waitcnt vmcnt(3)
	global_store_dwordx4 v[28:29], v[16:19], off offset:16
	s_waitcnt vmcnt(3)
	global_store_dwordx4 v[28:29], v[20:23], off offset:32
	;; [unrolled: 2-line block ×3, first 2 shown]
	s_cbranch_scc1 .LBB2_29
.LBB2_30:
	s_and_b32 s20, s20, 7
	s_cmp_eq_u32 s20, 0
	s_mov_b32 s1, 0
	s_cbranch_scc1 .LBB2_33
; %bb.31:
	s_mul_i32 s21, s11, s2
	s_mul_hi_u32 s22, s9, s2
	s_add_i32 s23, s22, s21
	s_mul_i32 s22, s9, s2
	v_lshlrev_b64 v[10:11], 1, v[2:3]
	v_lshl_add_u64 v[10:11], s[22:23], 1, v[10:11]
	s_lshl_b64 s[22:23], s[0:1], 1
	s_mul_hi_i32 s1, s8, s10
	s_mul_i32 s8, s8, s10
	s_add_u32 s22, s16, s22
	s_mul_i32 s10, s8, s33
	s_mul_hi_u32 s21, s8, s3
	v_lshl_add_u64 v[10:11], v[0:1], 1, v[10:11]
	s_addc_u32 s23, s17, s23
	s_add_i32 s10, s21, s10
	s_mul_i32 s1, s1, s3
	v_lshl_add_u64 v[10:11], s[22:23], 0, v[10:11]
	s_add_i32 s23, s10, s1
	s_mul_i32 s22, s8, s3
	s_lshl_b64 s[22:23], s[22:23], 1
	s_add_u32 s1, s22, -2
	s_addc_u32 s3, s23, -1
	s_mul_i32 s3, s4, s3
	s_mul_hi_u32 s8, s4, s1
	s_add_i32 s3, s8, s3
	s_mul_i32 s5, s5, s1
	s_mul_i32 s1, s4, s1
	s_add_i32 s3, s3, s5
	s_mul_i32 s4, s1, s15
	s_mul_hi_u32 s5, s1, s14
	s_add_i32 s4, s5, s4
	s_mul_i32 s3, s3, s14
	s_add_i32 s3, s4, s3
	s_mul_i32 s1, s1, s14
	s_lshl_b64 s[4:5], s[12:13], 1
	s_add_u32 s4, s1, s4
	s_addc_u32 s3, s3, s5
	s_ashr_i32 s1, s0, 31
	s_lshl_b64 s[0:1], s[0:1], 1
	s_add_u32 s0, s4, s0
	s_addc_u32 s1, s3, s1
	v_lshl_add_u64 v[4:5], v[4:5], 1, s[0:1]
	v_lshl_add_u64 v[4:5], v[6:7], 1, v[4:5]
	;; [unrolled: 1-line block ×3, first 2 shown]
.LBB2_32:                               ; =>This Inner Loop Header: Depth=1
	global_load_dwordx2 v[6:7], v[10:11], off
	s_add_i32 s20, s20, -1
	v_lshl_add_u64 v[10:11], v[10:11], 0, 8
	s_cmp_lg_u32 s20, 0
	s_waitcnt vmcnt(0)
	global_store_dwordx2 v[4:5], v[6:7], off
	v_lshl_add_u64 v[4:5], v[4:5], 0, 8
	s_cbranch_scc1 .LBB2_32
.LBB2_33:
	s_and_b32 s4, s7, 0x7ffffffc
	s_cmp_lg_u32 s4, s7
	s_cselect_b64 s[0:1], -1, 0
	s_and_b64 vcc, exec, s[0:1]
	s_cbranch_vccnz .LBB2_36
	s_branch .LBB2_38
.LBB2_34:
                                        ; implicit-def: $sgpr4_sgpr5
	s_branch .LBB2_4
.LBB2_35:
	s_mov_b32 s4, 0
	s_cbranch_execz .LBB2_38
.LBB2_36:
	s_mul_i32 s11, s11, s2
	s_mul_hi_u32 s1, s9, s2
	s_sub_i32 s3, s7, s4
	s_add_i32 s11, s1, s11
	s_mul_i32 s10, s9, s2
	v_lshlrev_b64 v[2:3], 1, v[2:3]
	s_lshl_b32 s1, s4, 1
	s_mul_i32 s0, s4, s6
	v_lshl_add_u64 v[2:3], s[10:11], 1, v[2:3]
	s_add_u32 s4, s16, s1
	v_lshl_add_u64 v[0:1], v[0:1], 1, v[2:3]
	s_addc_u32 s5, s17, 0
	v_lshl_add_u64 v[0:1], s[4:5], 0, v[0:1]
.LBB2_37:                               ; =>This Inner Loop Header: Depth=1
	global_load_ushort v4, v[0:1], off
	s_ashr_i32 s1, s0, 31
	s_add_i32 s3, s3, -1
	v_lshl_add_u64 v[2:3], s[0:1], 1, v[8:9]
	s_add_i32 s0, s0, s6
	v_lshl_add_u64 v[0:1], v[0:1], 0, 2
	s_cmp_lg_u32 s3, 0
	s_waitcnt vmcnt(0)
	global_store_short v[2:3], v4, off
	s_cbranch_scc1 .LBB2_37
.LBB2_38:
	s_endpgm
	.section	.rodata,"a",@progbits
	.p2align	6, 0x0
	.amdhsa_kernel _ZN4vllm24reshape_and_cache_kernelIttLNS_18Fp8KVCacheDataTypeE0EEEvPKT_S4_PT0_S6_PKliiiiiiPKfSA_
		.amdhsa_group_segment_fixed_size 0
		.amdhsa_private_segment_fixed_size 0
		.amdhsa_kernarg_size 80
		.amdhsa_user_sgpr_count 2
		.amdhsa_user_sgpr_dispatch_ptr 0
		.amdhsa_user_sgpr_queue_ptr 0
		.amdhsa_user_sgpr_kernarg_segment_ptr 1
		.amdhsa_user_sgpr_dispatch_id 0
		.amdhsa_user_sgpr_kernarg_preload_length 0
		.amdhsa_user_sgpr_kernarg_preload_offset 0
		.amdhsa_user_sgpr_private_segment_size 0
		.amdhsa_uses_dynamic_stack 0
		.amdhsa_enable_private_segment 0
		.amdhsa_system_sgpr_workgroup_id_x 1
		.amdhsa_system_sgpr_workgroup_id_y 0
		.amdhsa_system_sgpr_workgroup_id_z 0
		.amdhsa_system_sgpr_workgroup_info 0
		.amdhsa_system_vgpr_workitem_id 0
		.amdhsa_next_free_vgpr 42
		.amdhsa_next_free_sgpr 39
		.amdhsa_accum_offset 44
		.amdhsa_reserve_vcc 1
		.amdhsa_float_round_mode_32 0
		.amdhsa_float_round_mode_16_64 0
		.amdhsa_float_denorm_mode_32 3
		.amdhsa_float_denorm_mode_16_64 3
		.amdhsa_dx10_clamp 1
		.amdhsa_ieee_mode 1
		.amdhsa_fp16_overflow 0
		.amdhsa_tg_split 0
		.amdhsa_exception_fp_ieee_invalid_op 0
		.amdhsa_exception_fp_denorm_src 0
		.amdhsa_exception_fp_ieee_div_zero 0
		.amdhsa_exception_fp_ieee_overflow 0
		.amdhsa_exception_fp_ieee_underflow 0
		.amdhsa_exception_fp_ieee_inexact 0
		.amdhsa_exception_int_div_zero 0
	.end_amdhsa_kernel
	.section	.text._ZN4vllm24reshape_and_cache_kernelIttLNS_18Fp8KVCacheDataTypeE0EEEvPKT_S4_PT0_S6_PKliiiiiiPKfSA_,"axG",@progbits,_ZN4vllm24reshape_and_cache_kernelIttLNS_18Fp8KVCacheDataTypeE0EEEvPKT_S4_PT0_S6_PKliiiiiiPKfSA_,comdat
.Lfunc_end2:
	.size	_ZN4vllm24reshape_and_cache_kernelIttLNS_18Fp8KVCacheDataTypeE0EEEvPKT_S4_PT0_S6_PKliiiiiiPKfSA_, .Lfunc_end2-_ZN4vllm24reshape_and_cache_kernelIttLNS_18Fp8KVCacheDataTypeE0EEEvPKT_S4_PT0_S6_PKliiiiiiPKfSA_
                                        ; -- End function
	.section	.AMDGPU.csdata,"",@progbits
; Kernel info:
; codeLenInByte = 3352
; NumSgprs: 45
; NumVgprs: 42
; NumAgprs: 0
; TotalNumVgprs: 42
; ScratchSize: 0
; MemoryBound: 0
; FloatMode: 240
; IeeeMode: 1
; LDSByteSize: 0 bytes/workgroup (compile time only)
; SGPRBlocks: 5
; VGPRBlocks: 5
; NumSGPRsForWavesPerEU: 45
; NumVGPRsForWavesPerEU: 42
; AccumOffset: 44
; Occupancy: 8
; WaveLimiterHint : 0
; COMPUTE_PGM_RSRC2:SCRATCH_EN: 0
; COMPUTE_PGM_RSRC2:USER_SGPR: 2
; COMPUTE_PGM_RSRC2:TRAP_HANDLER: 0
; COMPUTE_PGM_RSRC2:TGID_X_EN: 1
; COMPUTE_PGM_RSRC2:TGID_Y_EN: 0
; COMPUTE_PGM_RSRC2:TGID_Z_EN: 0
; COMPUTE_PGM_RSRC2:TIDIG_COMP_CNT: 0
; COMPUTE_PGM_RSRC3_GFX90A:ACCUM_OFFSET: 10
; COMPUTE_PGM_RSRC3_GFX90A:TG_SPLIT: 0
	.section	.text._ZN4vllm24reshape_and_cache_kernelI14__hip_bfloat16S1_LNS_18Fp8KVCacheDataTypeE0EEEvPKT_S5_PT0_S7_PKliiiiiiPKfSB_,"axG",@progbits,_ZN4vllm24reshape_and_cache_kernelI14__hip_bfloat16S1_LNS_18Fp8KVCacheDataTypeE0EEEvPKT_S5_PT0_S7_PKliiiiiiPKfSB_,comdat
	.protected	_ZN4vllm24reshape_and_cache_kernelI14__hip_bfloat16S1_LNS_18Fp8KVCacheDataTypeE0EEEvPKT_S5_PT0_S7_PKliiiiiiPKfSB_ ; -- Begin function _ZN4vllm24reshape_and_cache_kernelI14__hip_bfloat16S1_LNS_18Fp8KVCacheDataTypeE0EEEvPKT_S5_PT0_S7_PKliiiiiiPKfSB_
	.globl	_ZN4vllm24reshape_and_cache_kernelI14__hip_bfloat16S1_LNS_18Fp8KVCacheDataTypeE0EEEvPKT_S5_PT0_S7_PKliiiiiiPKfSB_
	.p2align	8
	.type	_ZN4vllm24reshape_and_cache_kernelI14__hip_bfloat16S1_LNS_18Fp8KVCacheDataTypeE0EEEvPKT_S5_PT0_S7_PKliiiiiiPKfSB_,@function
_ZN4vllm24reshape_and_cache_kernelI14__hip_bfloat16S1_LNS_18Fp8KVCacheDataTypeE0EEEvPKT_S5_PT0_S7_PKliiiiiiPKfSB_: ; @_ZN4vllm24reshape_and_cache_kernelI14__hip_bfloat16S1_LNS_18Fp8KVCacheDataTypeE0EEEvPKT_S5_PT0_S7_PKliiiiiiPKfSB_
; %bb.0:
	s_load_dwordx2 s[4:5], s[0:1], 0x20
	s_mov_b32 s3, 0
	s_lshl_b64 s[6:7], s[2:3], 3
	s_waitcnt lgkmcnt(0)
	s_add_u32 s4, s4, s6
	s_addc_u32 s5, s5, s7
	s_load_dwordx2 s[12:13], s[4:5], 0x0
	s_waitcnt lgkmcnt(0)
	v_cmp_lt_i64_e64 s[4:5], s[12:13], 0
	s_and_b64 vcc, exec, s[4:5]
	s_cbranch_vccnz .LBB3_38
; %bb.1:
	s_load_dwordx2 s[6:7], s[0:1], 0x38
	s_load_dwordx4 s[8:11], s[0:1], 0x28
	s_waitcnt lgkmcnt(0)
	s_abs_i32 s3, s7
	v_cvt_f32_u32_e32 v1, s3
	s_sub_i32 s14, 0, s3
	s_abs_i32 s5, s11
	s_xor_b32 s4, s11, s7
	v_rcp_iflag_f32_e32 v1, v1
	s_ashr_i32 s4, s4, 31
	v_mul_f32_e32 v1, 0x4f7ffffe, v1
	v_cvt_u32_f32_e32 v1, v1
	s_nop 0
	v_readfirstlane_b32 s15, v1
	s_mul_i32 s14, s14, s15
	s_mul_hi_u32 s14, s15, s14
	s_add_i32 s15, s15, s14
	s_mul_hi_u32 s14, s5, s15
	s_mul_i32 s15, s14, s3
	s_sub_i32 s5, s5, s15
	s_add_i32 s16, s14, 1
	s_sub_i32 s15, s5, s3
	s_cmp_ge_u32 s5, s3
	s_cselect_b32 s14, s16, s14
	s_cselect_b32 s5, s15, s5
	s_add_i32 s15, s14, 1
	s_cmp_ge_u32 s5, s3
	s_cselect_b32 s3, s15, s14
	s_xor_b32 s3, s3, s4
	s_sub_i32 s3, s3, s4
	s_mul_i32 s18, s3, s10
	v_cmp_gt_i32_e32 vcc, s18, v0
	s_and_saveexec_b64 s[4:5], vcc
	s_cbranch_execz .LBB3_38
; %bb.2:
	s_load_dwordx2 s[16:17], s[0:1], 0x0
	s_ashr_i32 s15, s6, 31
	s_mov_b32 s14, s6
	s_or_b64 s[4:5], s[12:13], s[14:15]
	s_mov_b32 s4, 0
	s_cmp_lg_u64 s[4:5], 0
	s_cbranch_scc0 .LBB3_34
; %bb.3:
	s_add_u32 s4, s14, s15
	s_mov_b32 s22, s15
	s_mov_b32 s23, s15
	s_addc_u32 s5, s15, s15
	s_xor_b64 s[24:25], s[4:5], s[22:23]
	v_cvt_f32_u32_e32 v1, s24
	v_cvt_f32_u32_e32 v2, s25
	s_sub_u32 s4, 0, s24
	s_subb_u32 s5, 0, s25
	v_fmamk_f32 v1, v2, 0x4f800000, v1
	v_rcp_f32_e32 v1, v1
	s_nop 0
	v_mul_f32_e32 v1, 0x5f7ffffc, v1
	v_mul_f32_e32 v2, 0x2f800000, v1
	v_trunc_f32_e32 v2, v2
	v_fmamk_f32 v1, v2, 0xcf800000, v1
	v_cvt_u32_f32_e32 v2, v2
	v_cvt_u32_f32_e32 v1, v1
	v_readfirstlane_b32 s19, v2
	v_readfirstlane_b32 s26, v1
	s_mul_i32 s27, s4, s19
	s_mul_hi_u32 s29, s4, s26
	s_mul_i32 s28, s5, s26
	s_add_i32 s27, s29, s27
	s_add_i32 s27, s27, s28
	s_mul_i32 s30, s4, s26
	s_mul_hi_u32 s28, s26, s27
	s_mul_i32 s29, s26, s27
	s_mul_hi_u32 s26, s26, s30
	s_add_u32 s26, s26, s29
	s_addc_u32 s28, 0, s28
	s_mul_hi_u32 s31, s19, s30
	s_mul_i32 s30, s19, s30
	s_add_u32 s26, s26, s30
	s_mul_hi_u32 s29, s19, s27
	s_addc_u32 s26, s28, s31
	s_addc_u32 s28, s29, 0
	s_mul_i32 s27, s19, s27
	s_add_u32 s26, s26, s27
	s_addc_u32 s27, 0, s28
	v_add_co_u32_e32 v1, vcc, s26, v1
	s_cmp_lg_u64 vcc, 0
	s_addc_u32 s19, s19, s27
	v_readfirstlane_b32 s27, v1
	s_mul_i32 s26, s4, s19
	s_mul_hi_u32 s28, s4, s27
	s_add_i32 s26, s28, s26
	s_mul_i32 s5, s5, s27
	s_add_i32 s26, s26, s5
	s_mul_i32 s4, s4, s27
	s_mul_hi_u32 s28, s19, s4
	s_mul_i32 s29, s19, s4
	s_mul_i32 s31, s27, s26
	s_mul_hi_u32 s4, s27, s4
	s_mul_hi_u32 s30, s27, s26
	s_add_u32 s4, s4, s31
	s_addc_u32 s27, 0, s30
	s_add_u32 s4, s4, s29
	s_mul_hi_u32 s5, s19, s26
	s_addc_u32 s4, s27, s28
	s_addc_u32 s5, s5, 0
	s_mul_i32 s26, s19, s26
	s_add_u32 s4, s4, s26
	s_addc_u32 s5, 0, s5
	v_add_co_u32_e32 v1, vcc, s4, v1
	s_cmp_lg_u64 vcc, 0
	s_addc_u32 s19, s19, s5
	s_ashr_i32 s26, s13, 31
	s_add_u32 s4, s12, s26
	s_mov_b32 s27, s26
	s_addc_u32 s5, s13, s26
	s_xor_b64 s[28:29], s[4:5], s[26:27]
	v_readfirstlane_b32 s30, v1
	s_mul_i32 s5, s28, s19
	s_mul_hi_u32 s31, s28, s30
	s_mul_hi_u32 s4, s28, s19
	s_add_u32 s5, s31, s5
	s_addc_u32 s4, 0, s4
	s_mul_hi_u32 s33, s29, s30
	s_mul_i32 s30, s29, s30
	s_add_u32 s5, s5, s30
	s_mul_hi_u32 s31, s29, s19
	s_addc_u32 s4, s4, s33
	s_addc_u32 s5, s31, 0
	s_mul_i32 s19, s29, s19
	s_add_u32 s19, s4, s19
	s_addc_u32 s30, 0, s5
	s_mul_i32 s4, s24, s30
	s_mul_hi_u32 s5, s24, s19
	s_add_i32 s4, s5, s4
	s_mul_i32 s5, s25, s19
	s_add_i32 s31, s4, s5
	s_mul_i32 s5, s24, s19
	v_mov_b32_e32 v1, s5
	s_sub_i32 s4, s29, s31
	v_sub_co_u32_e32 v1, vcc, s28, v1
	s_cmp_lg_u64 vcc, 0
	s_subb_u32 s28, s4, s25
	v_subrev_co_u32_e64 v2, s[4:5], s24, v1
	s_cmp_lg_u64 s[4:5], 0
	s_subb_u32 s4, s28, 0
	s_cmp_ge_u32 s4, s25
	v_readfirstlane_b32 s28, v2
	s_cselect_b32 s5, -1, 0
	s_cmp_ge_u32 s28, s24
	s_cselect_b32 s28, -1, 0
	s_cmp_eq_u32 s4, s25
	s_cselect_b32 s4, s28, s5
	s_add_u32 s5, s19, 1
	s_addc_u32 s28, s30, 0
	s_add_u32 s33, s19, 2
	s_addc_u32 s34, s30, 0
	s_cmp_lg_u32 s4, 0
	s_cselect_b32 s4, s33, s5
	s_cselect_b32 s5, s34, s28
	s_cmp_lg_u64 vcc, 0
	s_subb_u32 s28, s29, s31
	s_cmp_ge_u32 s28, s25
	v_readfirstlane_b32 s31, v1
	s_cselect_b32 s29, -1, 0
	s_cmp_ge_u32 s31, s24
	s_cselect_b32 s24, -1, 0
	s_cmp_eq_u32 s28, s25
	s_cselect_b32 s24, s24, s29
	s_cmp_lg_u32 s24, 0
	s_cselect_b32 s5, s5, s30
	s_cselect_b32 s4, s4, s19
	s_xor_b64 s[22:23], s[26:27], s[22:23]
	s_xor_b64 s[4:5], s[4:5], s[22:23]
	s_sub_u32 s4, s4, s22
	s_subb_u32 s5, s5, s23
	s_cbranch_execnz .LBB3_5
.LBB3_4:
	v_cvt_f32_u32_e32 v1, s14
	s_sub_i32 s4, 0, s14
	s_mov_b32 s5, 0
	v_rcp_iflag_f32_e32 v1, v1
	s_nop 0
	v_mul_f32_e32 v1, 0x4f7ffffe, v1
	v_cvt_u32_f32_e32 v1, v1
	s_nop 0
	v_readfirstlane_b32 s19, v1
	s_mul_i32 s4, s4, s19
	s_mul_hi_u32 s4, s19, s4
	s_add_i32 s19, s19, s4
	s_mul_hi_u32 s4, s12, s19
	s_mul_i32 s20, s4, s14
	s_sub_i32 s20, s12, s20
	s_add_i32 s19, s4, 1
	s_sub_i32 s21, s20, s14
	s_cmp_ge_u32 s20, s14
	s_cselect_b32 s4, s19, s4
	s_cselect_b32 s20, s21, s20
	s_add_i32 s19, s4, 1
	s_cmp_ge_u32 s20, s14
	s_cselect_b32 s4, s19, s4
.LBB3_5:
	s_mul_i32 s19, s4, s15
	s_mul_hi_u32 s20, s4, s14
	s_add_i32 s19, s20, s19
	s_mul_i32 s20, s5, s14
	s_add_i32 s19, s19, s20
	s_mul_i32 s20, s4, s14
	s_sub_u32 s20, s12, s20
	s_subb_u32 s21, s13, s19
	s_abs_i32 s19, s3
	v_cvt_f32_u32_e32 v1, s19
	s_sub_i32 s24, 0, s19
	s_ashr_i32 s33, s3, 31
	s_mul_i32 s28, s18, s4
	v_rcp_iflag_f32_e32 v1, v1
	s_mul_i32 s29, s7, s14
	s_mul_hi_u32 s30, s29, s28
	s_load_dwordx2 s[22:23], s[0:1], 0x10
	v_mul_f32_e32 v1, 0x4f7ffffe, v1
	v_cvt_u32_f32_e32 v1, v1
	s_mul_i32 s38, s7, s6
	v_mov_b32_e32 v9, 0
	v_mul_lo_u32 v2, s24, v1
	v_mul_hi_u32 v2, v1, v2
	v_add_u32_e32 v1, v1, v2
	v_mul_hi_u32 v1, v0, v1
	v_mul_lo_u32 v2, v1, s19
	v_sub_u32_e32 v2, v0, v2
	v_add_u32_e32 v3, 1, v1
	v_cmp_le_u32_e32 vcc, s19, v2
	s_mul_hi_u32 s24, s8, s2
	s_nop 0
	v_cndmask_b32_e32 v1, v1, v3, vcc
	v_subrev_u32_e32 v3, s19, v2
	v_cndmask_b32_e32 v2, v2, v3, vcc
	v_add_u32_e32 v3, 1, v1
	v_cmp_le_u32_e32 vcc, s19, v2
	s_ashr_i32 s19, s8, 31
	s_mul_i32 s19, s19, s2
	v_cndmask_b32_e32 v1, v1, v3, vcc
	v_xor_b32_e32 v1, s33, v1
	v_subrev_u32_e32 v1, s33, v1
	s_add_i32 s25, s24, s19
	s_mul_i32 s24, s8, s2
	v_mul_lo_u32 v6, v1, s3
	s_lshl_b64 s[26:27], s[24:25], 1
	v_sub_u32_e32 v19, v0, v6
	s_waitcnt lgkmcnt(0)
	s_add_u32 s26, s16, s26
	v_mul_lo_u32 v0, v1, s11
	s_mul_hi_i32 s19, s3, s10
	s_mul_i32 s8, s18, s5
	s_mul_hi_u32 s11, s18, s4
	s_addc_u32 s27, s17, s27
	v_ashrrev_i32_e32 v1, 31, v0
	s_add_i32 s8, s11, s8
	s_mul_i32 s11, s19, s4
	v_lshl_add_u64 v[4:5], v[0:1], 1, s[26:27]
	s_add_i32 s26, s8, s11
	v_mul_lo_u32 v2, v19, s7
	s_mul_hi_i32 s27, s7, s14
	s_mul_i32 s26, s29, s26
	v_ashrrev_i32_e32 v3, 31, v2
	s_add_i32 s26, s30, s26
	s_mul_i32 s27, s27, s28
	v_lshl_add_u64 v[10:11], v[2:3], 1, v[4:5]
	s_ashr_i32 s11, s7, 31
	s_add_i32 s27, s26, s27
	s_mul_i32 s26, s29, s28
	s_and_b32 s28, s7, 7
	v_and_b32_e32 v8, 15, v10
	s_cmp_lg_u32 s28, 0
	v_mul_lo_u32 v4, s38, v6
	v_mul_lo_u32 v6, v2, s6
	v_cmp_ne_u64_e32 vcc, 0, v[8:9]
	s_cselect_b64 s[28:29], -1, 0
	s_mov_b32 s8, s7
	v_ashrrev_i32_e32 v5, 31, v4
	v_ashrrev_i32_e32 v7, 31, v6
	s_or_b64 s[28:29], s[28:29], vcc
	s_and_saveexec_b64 s[30:31], s[28:29]
	s_xor_b64 s[28:29], exec, s[30:31]
	s_cbranch_execz .LBB3_21
; %bb.6:
	v_sub_u32_e32 v8, 0, v10
	v_bfe_u32 v8, v8, 1, 3
	v_min_i32_e32 v8, s7, v8
	v_cmp_lt_i32_e32 vcc, 0, v8
	s_and_saveexec_b64 s[30:31], vcc
	s_cbranch_execz .LBB3_9
; %bb.7:
	s_lshl_b64 s[34:35], s[18:19], 1
	s_add_u32 s34, s34, -2
	s_addc_u32 s35, s35, -1
	s_mul_i32 s35, s4, s35
	s_mul_hi_u32 s36, s4, s34
	s_add_i32 s35, s36, s35
	s_mul_i32 s36, s5, s34
	s_mul_i32 s34, s4, s34
	s_add_i32 s35, s35, s36
	s_mul_i32 s36, s34, s15
	s_mul_hi_u32 s37, s34, s14
	s_add_i32 s36, s37, s36
	s_mul_i32 s35, s35, s14
	s_add_i32 s36, s36, s35
	s_mul_i32 s37, s34, s14
	s_lshl_b64 s[34:35], s[12:13], 1
	s_add_u32 s34, s37, s34
	s_addc_u32 s35, s36, s35
	v_lshlrev_b64 v[12:13], 1, v[4:5]
	s_mul_i32 s35, s35, s8
	s_mul_i32 s36, s34, s11
	v_mov_b32_e32 v9, s8
	s_add_i32 s36, s36, s35
	v_mad_u64_u32 v[12:13], s[34:35], s34, v9, v[12:13]
	v_add_u32_e32 v13, s36, v13
	v_lshl_add_u64 v[12:13], v[6:7], 1, v[12:13]
	v_lshl_add_u64 v[12:13], s[22:23], 0, v[12:13]
	s_mov_b64 s[34:35], 0
	v_mov_b32_e32 v9, v8
	v_mov_b64_e32 v[14:15], v[10:11]
.LBB3_8:                                ; =>This Inner Loop Header: Depth=1
	global_load_ushort v16, v[14:15], off
	v_add_u32_e32 v9, -1, v9
	v_cmp_eq_u32_e32 vcc, 0, v9
	v_lshl_add_u64 v[14:15], v[14:15], 0, 2
	s_or_b64 s[34:35], vcc, s[34:35]
	s_waitcnt vmcnt(0)
	global_store_short v[12:13], v16, off
	v_lshl_add_u64 v[12:13], v[12:13], 0, 2
	s_andn2_b64 exec, exec, s[34:35]
	s_cbranch_execnz .LBB3_8
.LBB3_9:
	s_or_b64 exec, exec, s[30:31]
	v_sub_u32_e32 v18, s7, v8
	v_ashrrev_i32_e32 v12, 31, v18
	v_lshrrev_b32_e32 v12, 29, v12
	v_add_u32_e32 v12, v18, v12
	v_ashrrev_i32_e32 v9, 31, v8
	v_ashrrev_i32_e32 v20, 3, v12
	v_cmp_lt_i32_e32 vcc, 7, v18
	s_and_saveexec_b64 s[30:31], vcc
	s_cbranch_execz .LBB3_12
; %bb.10:
	s_lshl_b64 s[34:35], s[18:19], 1
	s_add_u32 s34, s34, -2
	s_addc_u32 s35, s35, -1
	s_mul_i32 s35, s4, s35
	s_mul_hi_u32 s36, s4, s34
	s_add_i32 s35, s36, s35
	s_mul_i32 s36, s5, s34
	s_mul_i32 s34, s4, s34
	s_add_i32 s35, s35, s36
	s_mul_i32 s36, s34, s15
	s_mul_hi_u32 s37, s34, s14
	s_add_i32 s36, s37, s36
	s_mul_i32 s35, s35, s14
	s_add_i32 s36, s36, s35
	s_mul_i32 s37, s34, s14
	s_lshl_b64 s[34:35], s[12:13], 1
	s_add_u32 s34, s37, s34
	s_addc_u32 s35, s36, s35
	v_lshlrev_b64 v[14:15], 1, v[4:5]
	s_mul_i32 s35, s35, s8
	s_mul_i32 s36, s34, s11
	v_mov_b32_e32 v16, s8
	s_add_i32 s36, s36, s35
	v_mad_u64_u32 v[14:15], s[34:35], s34, v16, v[14:15]
	v_add_u32_e32 v15, s36, v15
	v_lshl_add_u64 v[14:15], v[6:7], 1, v[14:15]
	v_lshlrev_b64 v[12:13], 1, v[8:9]
	v_lshl_add_u64 v[14:15], s[22:23], 0, v[14:15]
	s_mov_b64 s[34:35], 0
	v_mov_b64_e32 v[16:17], v[10:11]
	v_mov_b32_e32 v21, v20
.LBB3_11:                               ; =>This Inner Loop Header: Depth=1
	v_lshl_add_u64 v[22:23], v[16:17], 0, v[12:13]
	global_load_dwordx4 v[22:25], v[22:23], off
	v_add_u32_e32 v21, -1, v21
	v_cmp_eq_u32_e32 vcc, 0, v21
	v_lshl_add_u64 v[26:27], v[14:15], 0, v[12:13]
	v_lshl_add_u64 v[14:15], v[14:15], 0, 16
	;; [unrolled: 1-line block ×3, first 2 shown]
	s_or_b64 s[34:35], vcc, s[34:35]
	s_waitcnt vmcnt(0)
	global_store_dwordx4 v[26:27], v[22:25], off
	s_andn2_b64 exec, exec, s[34:35]
	s_cbranch_execnz .LBB3_11
.LBB3_12:
	s_or_b64 exec, exec, s[30:31]
	v_lshlrev_b32_e32 v12, 3, v20
	v_cmp_lt_i32_e32 vcc, v12, v18
	s_and_saveexec_b64 s[30:31], vcc
	s_cbranch_execz .LBB3_20
; %bb.13:
	v_add_u32_e32 v13, v8, v12
	v_sub_u32_e32 v13, s7, v13
	v_cmp_lt_u32_e32 vcc, 31, v13
	s_mov_b64 s[36:37], -1
	s_and_saveexec_b64 s[34:35], vcc
	s_cbranch_execz .LBB3_17
; %bb.14:
	s_lshl_b64 s[36:37], s[26:27], 1
	s_add_u32 s36, s22, s36
	s_addc_u32 s37, s23, s37
	v_lshl_add_u64 v[14:15], v[4:5], 1, s[36:37]
	v_mul_lo_u32 v16, s38, v19
	s_mul_i32 s36, s20, s11
	s_mul_hi_u32 s37, s20, s8
	v_ashrrev_i32_e32 v17, 31, v16
	s_add_i32 s36, s37, s36
	s_mul_i32 s37, s21, s8
	v_lshl_add_u64 v[14:15], v[16:17], 1, v[14:15]
	s_add_i32 s37, s36, s37
	s_mul_i32 s36, s20, s8
	v_lshl_add_u64 v[14:15], s[36:37], 1, v[14:15]
	v_lshlrev_b64 v[16:17], 1, v[8:9]
	v_and_b32_e32 v19, 0xffffffe0, v13
	v_lshl_add_u64 v[10:11], v[10:11], 0, v[16:17]
	v_lshl_add_u64 v[14:15], v[14:15], 0, v[16:17]
	s_mov_b64 s[36:37], 0
	v_mov_b32_e32 v16, v12
	v_mov_b32_e32 v20, v19
.LBB3_15:                               ; =>This Inner Loop Header: Depth=1
	v_ashrrev_i32_e32 v17, 31, v16
	v_lshlrev_b64 v[38:39], 1, v[16:17]
	v_lshl_add_u64 v[40:41], v[10:11], 0, v[38:39]
	global_load_dwordx4 v[22:25], v[40:41], off
	global_load_dwordx4 v[26:29], v[40:41], off offset:16
	global_load_dwordx4 v[30:33], v[40:41], off offset:32
	;; [unrolled: 1-line block ×3, first 2 shown]
	v_subrev_u32_e32 v20, 32, v20
	v_cmp_eq_u32_e32 vcc, 0, v20
	v_lshl_add_u64 v[38:39], v[14:15], 0, v[38:39]
	s_or_b64 s[36:37], vcc, s[36:37]
	v_add_u32_e32 v16, 32, v16
	s_waitcnt vmcnt(3)
	global_store_dwordx2 v[38:39], v[22:23], off
	v_mov_b32_e32 v22, v24
	v_mov_b32_e32 v23, v25
	s_waitcnt vmcnt(3)
	v_mov_b32_e32 v24, v26
	v_mov_b32_e32 v25, v27
	v_mov_b32_e32 v26, v28
	v_mov_b32_e32 v27, v29
	s_waitcnt vmcnt(2)
	v_mov_b32_e32 v28, v30
	v_mov_b32_e32 v29, v31
	;; [unrolled: 5-line block ×3, first 2 shown]
	global_store_dwordx2 v[38:39], v[36:37], off offset:56
	global_store_dwordx4 v[38:39], v[22:25], off offset:8
	global_store_dwordx4 v[38:39], v[26:29], off offset:24
	;; [unrolled: 1-line block ×3, first 2 shown]
	s_andn2_b64 exec, exec, s[36:37]
	s_cbranch_execnz .LBB3_15
; %bb.16:
	s_or_b64 exec, exec, s[36:37]
	v_cmp_ne_u32_e32 vcc, v13, v19
	v_add_u32_e32 v12, v12, v19
	s_orn2_b64 s[36:37], vcc, exec
.LBB3_17:
	s_or_b64 exec, exec, s[34:35]
	s_and_b64 exec, exec, s[36:37]
	s_cbranch_execz .LBB3_20
; %bb.18:
	s_lshl_b64 s[34:35], s[18:19], 1
	s_add_u32 s34, s34, -2
	s_addc_u32 s35, s35, -1
	s_mul_i32 s35, s4, s35
	s_mul_hi_u32 s36, s4, s34
	s_add_i32 s35, s36, s35
	s_mul_i32 s36, s5, s34
	s_mul_i32 s34, s4, s34
	s_add_i32 s35, s35, s36
	s_mul_i32 s36, s34, s15
	s_mul_hi_u32 s37, s34, s14
	s_add_i32 s36, s37, s36
	s_mul_i32 s35, s35, s14
	s_add_i32 s36, s36, s35
	s_mul_i32 s37, s34, s14
	s_lshl_b64 s[34:35], s[12:13], 1
	s_add_u32 s34, s37, s34
	v_ashrrev_i32_e32 v13, 31, v12
	s_addc_u32 s35, s36, s35
	v_lshlrev_b64 v[10:11], 1, v[8:9]
	v_lshlrev_b64 v[14:15], 1, v[12:13]
	s_mul_i32 s35, s35, s8
	s_mul_i32 s36, s34, s11
	v_mov_b32_e32 v13, s8
	v_lshl_add_u64 v[8:9], s[24:25], 1, v[10:11]
	s_add_i32 s36, s36, s35
	v_mad_u64_u32 v[10:11], s[34:35], s34, v13, v[10:11]
	v_add_u32_e32 v11, s36, v11
	v_lshl_add_u64 v[8:9], v[8:9], 0, v[14:15]
	v_lshl_add_u64 v[10:11], v[10:11], 0, v[14:15]
	;; [unrolled: 1-line block ×8, first 2 shown]
	s_mov_b64 s[34:35], 0
.LBB3_19:                               ; =>This Inner Loop Header: Depth=1
	global_load_ushort v13, v[8:9], off
	v_add_u32_e32 v12, 1, v12
	v_cmp_ge_i32_e32 vcc, v12, v18
	v_lshl_add_u64 v[8:9], v[8:9], 0, 2
	s_or_b64 s[34:35], vcc, s[34:35]
	s_waitcnt vmcnt(0)
	global_store_short v[10:11], v13, off
	v_lshl_add_u64 v[10:11], v[10:11], 0, 2
	s_andn2_b64 exec, exec, s[34:35]
	s_cbranch_execnz .LBB3_19
.LBB3_20:
	s_or_b64 exec, exec, s[30:31]
.LBB3_21:
	s_andn2_saveexec_b64 s[28:29], s[28:29]
	s_cbranch_execz .LBB3_25
; %bb.22:
	s_ashr_i32 s30, s7, 3
	s_cmp_lt_i32 s30, 1
	s_cbranch_scc1 .LBB3_25
; %bb.23:
	s_lshl_b64 s[18:19], s[18:19], 1
	s_add_u32 s18, s18, -2
	s_addc_u32 s19, s19, -1
	s_mul_i32 s19, s4, s19
	s_mul_hi_u32 s31, s4, s18
	s_add_i32 s19, s31, s19
	s_mul_i32 s31, s5, s18
	s_mul_i32 s18, s4, s18
	s_add_i32 s19, s19, s31
	s_mul_i32 s31, s18, s15
	s_mul_hi_u32 s34, s18, s14
	s_add_i32 s31, s34, s31
	s_mul_i32 s19, s19, s14
	s_add_i32 s31, s31, s19
	s_mul_i32 s34, s18, s14
	s_lshl_b64 s[18:19], s[12:13], 1
	s_add_u32 s18, s34, s18
	s_addc_u32 s19, s31, s19
	v_lshlrev_b64 v[8:9], 1, v[4:5]
	s_mul_i32 s19, s19, s8
	s_mul_i32 s11, s18, s11
	v_mov_b32_e32 v10, s8
	s_add_i32 s11, s11, s19
	v_mad_u64_u32 v[8:9], s[18:19], s18, v10, v[8:9]
	v_lshlrev_b64 v[10:11], 1, v[2:3]
	v_add_u32_e32 v9, s11, v9
	v_lshl_add_u64 v[10:11], s[24:25], 1, v[10:11]
	v_lshl_add_u64 v[8:9], v[6:7], 1, v[8:9]
	;; [unrolled: 1-line block ×7, first 2 shown]
.LBB3_24:                               ; =>This Inner Loop Header: Depth=1
	global_load_dwordx4 v[12:15], v[10:11], off offset:-8
	s_add_i32 s30, s30, -1
	v_lshl_add_u64 v[10:11], v[10:11], 0, 16
	s_cmp_eq_u32 s30, 0
	s_waitcnt vmcnt(0)
	global_store_dwordx4 v[8:9], v[12:15], off offset:-8
	v_lshl_add_u64 v[8:9], v[8:9], 0, 16
	s_cbranch_scc0 .LBB3_24
.LBB3_25:
	s_or_b64 exec, exec, s[28:29]
	s_cmp_lt_i32 s7, 1
	s_cbranch_scc1 .LBB3_38
; %bb.26:
	s_load_dwordx2 s[18:19], s[0:1], 0x18
	s_load_dwordx2 s[16:17], s[0:1], 0x8
	s_lshl_b64 s[0:1], s[26:27], 1
	s_waitcnt lgkmcnt(0)
	s_add_u32 s0, s18, s0
	s_addc_u32 s1, s19, s1
	s_ashr_i32 s11, s9, 31
	v_lshl_add_u64 v[8:9], v[4:5], 1, s[0:1]
	s_cmp_lt_u32 s7, 4
	v_lshl_add_u64 v[8:9], v[6:7], 1, v[8:9]
	s_cselect_b64 s[0:1], -1, 0
	s_cmp_lg_u32 s6, 1
	v_lshl_add_u64 v[8:9], s[20:21], 1, v[8:9]
	s_cselect_b64 s[20:21], -1, 0
	s_or_b64 s[0:1], s[0:1], s[20:21]
	s_and_b64 vcc, exec, s[0:1]
	s_cbranch_vccnz .LBB3_35
; %bb.27:
	s_add_i32 s0, s7, -4
	s_lshr_b32 s20, s0, 2
	s_add_i32 s20, s20, 1
	s_cmp_lt_u32 s0, 28
	s_mov_b32 s0, 0
	s_cbranch_scc1 .LBB3_30
; %bb.28:
	s_mul_i32 s0, s11, s2
	s_mul_hi_u32 s1, s9, s2
	s_add_i32 s1, s1, s0
	s_mul_i32 s0, s9, s2
	v_lshlrev_b64 v[10:11], 1, v[2:3]
	v_lshl_add_u64 v[10:11], s[0:1], 1, v[10:11]
	v_lshl_add_u64 v[10:11], v[0:1], 1, v[10:11]
	;; [unrolled: 1-line block ×3, first 2 shown]
	s_and_b32 s21, s20, 0x7ffffff8
	v_lshl_add_u64 v[10:11], v[10:11], 0, 56
	s_mov_b32 s0, 0
.LBB3_29:                               ; =>This Inner Loop Header: Depth=1
	global_load_dwordx4 v[12:15], v[10:11], off offset:-56
	global_load_dwordx4 v[16:19], v[10:11], off offset:-40
	;; [unrolled: 1-line block ×4, first 2 shown]
	s_ashr_i32 s1, s0, 31
	s_add_i32 s21, s21, -8
	v_lshl_add_u64 v[28:29], s[0:1], 1, v[8:9]
	s_add_i32 s0, s0, 32
	v_lshl_add_u64 v[10:11], v[10:11], 0, 64
	s_cmp_lg_u32 s21, 0
	s_waitcnt vmcnt(3)
	global_store_dwordx4 v[28:29], v[12:15], off
	s_waitcnt vmcnt(3)
	global_store_dwordx4 v[28:29], v[16:19], off offset:16
	s_waitcnt vmcnt(3)
	global_store_dwordx4 v[28:29], v[20:23], off offset:32
	;; [unrolled: 2-line block ×3, first 2 shown]
	s_cbranch_scc1 .LBB3_29
.LBB3_30:
	s_and_b32 s20, s20, 7
	s_cmp_eq_u32 s20, 0
	s_mov_b32 s1, 0
	s_cbranch_scc1 .LBB3_33
; %bb.31:
	s_mul_i32 s21, s11, s2
	s_mul_hi_u32 s22, s9, s2
	s_add_i32 s23, s22, s21
	s_mul_i32 s22, s9, s2
	v_lshlrev_b64 v[10:11], 1, v[2:3]
	v_lshl_add_u64 v[10:11], s[22:23], 1, v[10:11]
	s_lshl_b64 s[22:23], s[0:1], 1
	s_mul_hi_i32 s1, s8, s10
	s_mul_i32 s8, s8, s10
	s_add_u32 s22, s16, s22
	s_mul_i32 s10, s8, s33
	s_mul_hi_u32 s21, s8, s3
	v_lshl_add_u64 v[10:11], v[0:1], 1, v[10:11]
	s_addc_u32 s23, s17, s23
	s_add_i32 s10, s21, s10
	s_mul_i32 s1, s1, s3
	v_lshl_add_u64 v[10:11], s[22:23], 0, v[10:11]
	s_add_i32 s23, s10, s1
	s_mul_i32 s22, s8, s3
	s_lshl_b64 s[22:23], s[22:23], 1
	s_add_u32 s1, s22, -2
	s_addc_u32 s3, s23, -1
	s_mul_i32 s3, s4, s3
	s_mul_hi_u32 s8, s4, s1
	s_add_i32 s3, s8, s3
	s_mul_i32 s5, s5, s1
	s_mul_i32 s1, s4, s1
	s_add_i32 s3, s3, s5
	s_mul_i32 s4, s1, s15
	s_mul_hi_u32 s5, s1, s14
	s_add_i32 s4, s5, s4
	s_mul_i32 s3, s3, s14
	s_add_i32 s3, s4, s3
	s_mul_i32 s1, s1, s14
	s_lshl_b64 s[4:5], s[12:13], 1
	s_add_u32 s4, s1, s4
	s_addc_u32 s3, s3, s5
	s_ashr_i32 s1, s0, 31
	s_lshl_b64 s[0:1], s[0:1], 1
	s_add_u32 s0, s4, s0
	s_addc_u32 s1, s3, s1
	v_lshl_add_u64 v[4:5], v[4:5], 1, s[0:1]
	v_lshl_add_u64 v[4:5], v[6:7], 1, v[4:5]
	;; [unrolled: 1-line block ×3, first 2 shown]
.LBB3_32:                               ; =>This Inner Loop Header: Depth=1
	global_load_dwordx2 v[6:7], v[10:11], off
	s_add_i32 s20, s20, -1
	v_lshl_add_u64 v[10:11], v[10:11], 0, 8
	s_cmp_lg_u32 s20, 0
	s_waitcnt vmcnt(0)
	global_store_dwordx2 v[4:5], v[6:7], off
	v_lshl_add_u64 v[4:5], v[4:5], 0, 8
	s_cbranch_scc1 .LBB3_32
.LBB3_33:
	s_and_b32 s4, s7, 0x7ffffffc
	s_cmp_lg_u32 s4, s7
	s_cselect_b64 s[0:1], -1, 0
	s_and_b64 vcc, exec, s[0:1]
	s_cbranch_vccnz .LBB3_36
	s_branch .LBB3_38
.LBB3_34:
                                        ; implicit-def: $sgpr4_sgpr5
	s_branch .LBB3_4
.LBB3_35:
	s_mov_b32 s4, 0
	s_cbranch_execz .LBB3_38
.LBB3_36:
	s_mul_i32 s11, s11, s2
	s_mul_hi_u32 s1, s9, s2
	s_sub_i32 s3, s7, s4
	s_add_i32 s11, s1, s11
	s_mul_i32 s10, s9, s2
	v_lshlrev_b64 v[2:3], 1, v[2:3]
	s_lshl_b32 s1, s4, 1
	s_mul_i32 s0, s4, s6
	v_lshl_add_u64 v[2:3], s[10:11], 1, v[2:3]
	s_add_u32 s4, s16, s1
	v_lshl_add_u64 v[0:1], v[0:1], 1, v[2:3]
	s_addc_u32 s5, s17, 0
	v_lshl_add_u64 v[0:1], s[4:5], 0, v[0:1]
.LBB3_37:                               ; =>This Inner Loop Header: Depth=1
	global_load_ushort v4, v[0:1], off
	s_ashr_i32 s1, s0, 31
	s_add_i32 s3, s3, -1
	v_lshl_add_u64 v[2:3], s[0:1], 1, v[8:9]
	s_add_i32 s0, s0, s6
	v_lshl_add_u64 v[0:1], v[0:1], 0, 2
	s_cmp_lg_u32 s3, 0
	s_waitcnt vmcnt(0)
	global_store_short v[2:3], v4, off
	s_cbranch_scc1 .LBB3_37
.LBB3_38:
	s_endpgm
	.section	.rodata,"a",@progbits
	.p2align	6, 0x0
	.amdhsa_kernel _ZN4vllm24reshape_and_cache_kernelI14__hip_bfloat16S1_LNS_18Fp8KVCacheDataTypeE0EEEvPKT_S5_PT0_S7_PKliiiiiiPKfSB_
		.amdhsa_group_segment_fixed_size 0
		.amdhsa_private_segment_fixed_size 0
		.amdhsa_kernarg_size 80
		.amdhsa_user_sgpr_count 2
		.amdhsa_user_sgpr_dispatch_ptr 0
		.amdhsa_user_sgpr_queue_ptr 0
		.amdhsa_user_sgpr_kernarg_segment_ptr 1
		.amdhsa_user_sgpr_dispatch_id 0
		.amdhsa_user_sgpr_kernarg_preload_length 0
		.amdhsa_user_sgpr_kernarg_preload_offset 0
		.amdhsa_user_sgpr_private_segment_size 0
		.amdhsa_uses_dynamic_stack 0
		.amdhsa_enable_private_segment 0
		.amdhsa_system_sgpr_workgroup_id_x 1
		.amdhsa_system_sgpr_workgroup_id_y 0
		.amdhsa_system_sgpr_workgroup_id_z 0
		.amdhsa_system_sgpr_workgroup_info 0
		.amdhsa_system_vgpr_workitem_id 0
		.amdhsa_next_free_vgpr 42
		.amdhsa_next_free_sgpr 39
		.amdhsa_accum_offset 44
		.amdhsa_reserve_vcc 1
		.amdhsa_float_round_mode_32 0
		.amdhsa_float_round_mode_16_64 0
		.amdhsa_float_denorm_mode_32 3
		.amdhsa_float_denorm_mode_16_64 3
		.amdhsa_dx10_clamp 1
		.amdhsa_ieee_mode 1
		.amdhsa_fp16_overflow 0
		.amdhsa_tg_split 0
		.amdhsa_exception_fp_ieee_invalid_op 0
		.amdhsa_exception_fp_denorm_src 0
		.amdhsa_exception_fp_ieee_div_zero 0
		.amdhsa_exception_fp_ieee_overflow 0
		.amdhsa_exception_fp_ieee_underflow 0
		.amdhsa_exception_fp_ieee_inexact 0
		.amdhsa_exception_int_div_zero 0
	.end_amdhsa_kernel
	.section	.text._ZN4vllm24reshape_and_cache_kernelI14__hip_bfloat16S1_LNS_18Fp8KVCacheDataTypeE0EEEvPKT_S5_PT0_S7_PKliiiiiiPKfSB_,"axG",@progbits,_ZN4vllm24reshape_and_cache_kernelI14__hip_bfloat16S1_LNS_18Fp8KVCacheDataTypeE0EEEvPKT_S5_PT0_S7_PKliiiiiiPKfSB_,comdat
.Lfunc_end3:
	.size	_ZN4vllm24reshape_and_cache_kernelI14__hip_bfloat16S1_LNS_18Fp8KVCacheDataTypeE0EEEvPKT_S5_PT0_S7_PKliiiiiiPKfSB_, .Lfunc_end3-_ZN4vllm24reshape_and_cache_kernelI14__hip_bfloat16S1_LNS_18Fp8KVCacheDataTypeE0EEEvPKT_S5_PT0_S7_PKliiiiiiPKfSB_
                                        ; -- End function
	.section	.AMDGPU.csdata,"",@progbits
; Kernel info:
; codeLenInByte = 3352
; NumSgprs: 45
; NumVgprs: 42
; NumAgprs: 0
; TotalNumVgprs: 42
; ScratchSize: 0
; MemoryBound: 0
; FloatMode: 240
; IeeeMode: 1
; LDSByteSize: 0 bytes/workgroup (compile time only)
; SGPRBlocks: 5
; VGPRBlocks: 5
; NumSGPRsForWavesPerEU: 45
; NumVGPRsForWavesPerEU: 42
; AccumOffset: 44
; Occupancy: 8
; WaveLimiterHint : 0
; COMPUTE_PGM_RSRC2:SCRATCH_EN: 0
; COMPUTE_PGM_RSRC2:USER_SGPR: 2
; COMPUTE_PGM_RSRC2:TRAP_HANDLER: 0
; COMPUTE_PGM_RSRC2:TGID_X_EN: 1
; COMPUTE_PGM_RSRC2:TGID_Y_EN: 0
; COMPUTE_PGM_RSRC2:TGID_Z_EN: 0
; COMPUTE_PGM_RSRC2:TIDIG_COMP_CNT: 0
; COMPUTE_PGM_RSRC3_GFX90A:ACCUM_OFFSET: 10
; COMPUTE_PGM_RSRC3_GFX90A:TG_SPLIT: 0
	.section	.text._ZN4vllm24reshape_and_cache_kernelIfhLNS_18Fp8KVCacheDataTypeE1EEEvPKT_S4_PT0_S6_PKliiiiiiPKfSA_,"axG",@progbits,_ZN4vllm24reshape_and_cache_kernelIfhLNS_18Fp8KVCacheDataTypeE1EEEvPKT_S4_PT0_S6_PKliiiiiiPKfSA_,comdat
	.protected	_ZN4vllm24reshape_and_cache_kernelIfhLNS_18Fp8KVCacheDataTypeE1EEEvPKT_S4_PT0_S6_PKliiiiiiPKfSA_ ; -- Begin function _ZN4vllm24reshape_and_cache_kernelIfhLNS_18Fp8KVCacheDataTypeE1EEEvPKT_S4_PT0_S6_PKliiiiiiPKfSA_
	.globl	_ZN4vllm24reshape_and_cache_kernelIfhLNS_18Fp8KVCacheDataTypeE1EEEvPKT_S4_PT0_S6_PKliiiiiiPKfSA_
	.p2align	8
	.type	_ZN4vllm24reshape_and_cache_kernelIfhLNS_18Fp8KVCacheDataTypeE1EEEvPKT_S4_PT0_S6_PKliiiiiiPKfSA_,@function
_ZN4vllm24reshape_and_cache_kernelIfhLNS_18Fp8KVCacheDataTypeE1EEEvPKT_S4_PT0_S6_PKliiiiiiPKfSA_: ; @_ZN4vllm24reshape_and_cache_kernelIfhLNS_18Fp8KVCacheDataTypeE1EEEvPKT_S4_PT0_S6_PKliiiiiiPKfSA_
; %bb.0:
	s_load_dwordx2 s[4:5], s[0:1], 0x20
	s_mov_b32 s3, 0
	s_lshl_b64 s[6:7], s[2:3], 3
	s_waitcnt lgkmcnt(0)
	s_add_u32 s4, s4, s6
	s_addc_u32 s5, s5, s7
	s_load_dwordx2 s[16:17], s[4:5], 0x0
	s_waitcnt lgkmcnt(0)
	v_cmp_lt_i64_e64 s[4:5], s[16:17], 0
	s_and_b64 vcc, exec, s[4:5]
	s_cbranch_vccnz .LBB4_27
; %bb.1:
	s_load_dwordx2 s[10:11], s[0:1], 0x38
	s_load_dwordx4 s[12:15], s[0:1], 0x28
	s_waitcnt lgkmcnt(0)
	s_abs_i32 s3, s11
	v_cvt_f32_u32_e32 v1, s3
	s_sub_i32 s6, 0, s3
	s_abs_i32 s5, s15
	s_xor_b32 s4, s15, s11
	v_rcp_iflag_f32_e32 v1, v1
	s_ashr_i32 s4, s4, 31
	v_mul_f32_e32 v1, 0x4f7ffffe, v1
	v_cvt_u32_f32_e32 v1, v1
	s_nop 0
	v_readfirstlane_b32 s7, v1
	s_mul_i32 s6, s6, s7
	s_mul_hi_u32 s6, s7, s6
	s_add_i32 s7, s7, s6
	s_mul_hi_u32 s6, s5, s7
	s_mul_i32 s7, s6, s3
	s_sub_i32 s5, s5, s7
	s_add_i32 s8, s6, 1
	s_sub_i32 s7, s5, s3
	s_cmp_ge_u32 s5, s3
	s_cselect_b32 s6, s8, s6
	s_cselect_b32 s5, s7, s5
	s_add_i32 s7, s6, 1
	s_cmp_ge_u32 s5, s3
	s_cselect_b32 s3, s7, s6
	s_xor_b32 s3, s3, s4
	s_sub_i32 s28, s3, s4
	s_mul_i32 s3, s28, s14
	v_cmp_gt_i32_e32 vcc, s3, v0
	s_and_saveexec_b64 s[4:5], vcc
	s_cbranch_execz .LBB4_27
; %bb.2:
	s_load_dwordx2 s[22:23], s[0:1], 0x0
	s_ashr_i32 s19, s10, 31
	s_mov_b32 s18, s10
	s_or_b64 s[4:5], s[16:17], s[18:19]
	s_mov_b32 s4, 0
	s_cmp_lg_u64 s[4:5], 0
	s_cbranch_scc0 .LBB4_28
; %bb.3:
	s_add_u32 s4, s18, s19
	s_mov_b32 s8, s19
	s_mov_b32 s9, s19
	s_addc_u32 s5, s19, s19
	s_xor_b64 s[20:21], s[4:5], s[8:9]
	v_cvt_f32_u32_e32 v1, s20
	v_cvt_f32_u32_e32 v2, s21
	s_sub_u32 s4, 0, s20
	s_subb_u32 s5, 0, s21
	v_fmamk_f32 v1, v2, 0x4f800000, v1
	v_rcp_f32_e32 v1, v1
	s_nop 0
	v_mul_f32_e32 v1, 0x5f7ffffc, v1
	v_mul_f32_e32 v2, 0x2f800000, v1
	v_trunc_f32_e32 v2, v2
	v_fmamk_f32 v1, v2, 0xcf800000, v1
	v_cvt_u32_f32_e32 v2, v2
	v_cvt_u32_f32_e32 v1, v1
	v_readfirstlane_b32 s24, v2
	v_readfirstlane_b32 s25, v1
	s_mul_i32 s26, s4, s24
	s_mul_hi_u32 s29, s4, s25
	s_mul_i32 s27, s5, s25
	s_add_i32 s26, s29, s26
	s_add_i32 s26, s26, s27
	s_mul_i32 s30, s4, s25
	s_mul_hi_u32 s27, s25, s26
	s_mul_i32 s29, s25, s26
	s_mul_hi_u32 s25, s25, s30
	s_add_u32 s25, s25, s29
	s_addc_u32 s27, 0, s27
	s_mul_hi_u32 s31, s24, s30
	s_mul_i32 s30, s24, s30
	s_add_u32 s25, s25, s30
	s_mul_hi_u32 s29, s24, s26
	s_addc_u32 s25, s27, s31
	s_addc_u32 s27, s29, 0
	s_mul_i32 s26, s24, s26
	s_add_u32 s25, s25, s26
	s_addc_u32 s26, 0, s27
	v_add_co_u32_e32 v1, vcc, s25, v1
	s_cmp_lg_u64 vcc, 0
	s_addc_u32 s24, s24, s26
	v_readfirstlane_b32 s26, v1
	s_mul_i32 s25, s4, s24
	s_mul_hi_u32 s27, s4, s26
	s_add_i32 s25, s27, s25
	s_mul_i32 s5, s5, s26
	s_add_i32 s25, s25, s5
	s_mul_i32 s4, s4, s26
	s_mul_hi_u32 s27, s24, s4
	s_mul_i32 s29, s24, s4
	s_mul_i32 s31, s26, s25
	s_mul_hi_u32 s4, s26, s4
	s_mul_hi_u32 s30, s26, s25
	s_add_u32 s4, s4, s31
	s_addc_u32 s26, 0, s30
	s_add_u32 s4, s4, s29
	s_mul_hi_u32 s5, s24, s25
	s_addc_u32 s4, s26, s27
	s_addc_u32 s5, s5, 0
	s_mul_i32 s25, s24, s25
	s_add_u32 s4, s4, s25
	s_addc_u32 s5, 0, s5
	v_add_co_u32_e32 v1, vcc, s4, v1
	s_cmp_lg_u64 vcc, 0
	s_addc_u32 s29, s24, s5
	s_ashr_i32 s24, s17, 31
	s_add_u32 s4, s16, s24
	s_mov_b32 s25, s24
	s_addc_u32 s5, s17, s24
	s_xor_b64 s[26:27], s[4:5], s[24:25]
	v_readfirstlane_b32 s30, v1
	s_mul_i32 s5, s26, s29
	s_mul_hi_u32 s31, s26, s30
	s_mul_hi_u32 s4, s26, s29
	s_add_u32 s5, s31, s5
	s_addc_u32 s4, 0, s4
	s_mul_hi_u32 s33, s27, s30
	s_mul_i32 s30, s27, s30
	s_add_u32 s5, s5, s30
	s_mul_hi_u32 s31, s27, s29
	s_addc_u32 s4, s4, s33
	s_addc_u32 s5, s31, 0
	s_mul_i32 s29, s27, s29
	s_add_u32 s29, s4, s29
	s_addc_u32 s30, 0, s5
	s_mul_i32 s4, s20, s30
	s_mul_hi_u32 s5, s20, s29
	s_add_i32 s4, s5, s4
	s_mul_i32 s5, s21, s29
	s_add_i32 s31, s4, s5
	s_mul_i32 s5, s20, s29
	v_mov_b32_e32 v1, s5
	s_sub_i32 s4, s27, s31
	v_sub_co_u32_e32 v1, vcc, s26, v1
	s_cmp_lg_u64 vcc, 0
	s_subb_u32 s26, s4, s21
	v_subrev_co_u32_e64 v2, s[4:5], s20, v1
	s_cmp_lg_u64 s[4:5], 0
	s_subb_u32 s4, s26, 0
	s_cmp_ge_u32 s4, s21
	v_readfirstlane_b32 s26, v2
	s_cselect_b32 s5, -1, 0
	s_cmp_ge_u32 s26, s20
	s_cselect_b32 s26, -1, 0
	s_cmp_eq_u32 s4, s21
	s_cselect_b32 s4, s26, s5
	s_add_u32 s5, s29, 1
	s_addc_u32 s26, s30, 0
	s_add_u32 s33, s29, 2
	s_addc_u32 s34, s30, 0
	s_cmp_lg_u32 s4, 0
	s_cselect_b32 s4, s33, s5
	s_cselect_b32 s5, s34, s26
	s_cmp_lg_u64 vcc, 0
	s_subb_u32 s26, s27, s31
	s_cmp_ge_u32 s26, s21
	v_readfirstlane_b32 s31, v1
	s_cselect_b32 s27, -1, 0
	s_cmp_ge_u32 s31, s20
	s_cselect_b32 s20, -1, 0
	s_cmp_eq_u32 s26, s21
	s_cselect_b32 s20, s20, s27
	s_cmp_lg_u32 s20, 0
	s_cselect_b32 s5, s5, s30
	s_cselect_b32 s4, s4, s29
	s_xor_b64 s[8:9], s[24:25], s[8:9]
	s_xor_b64 s[4:5], s[4:5], s[8:9]
	s_sub_u32 s20, s4, s8
	s_subb_u32 s21, s5, s9
	s_cbranch_execnz .LBB4_5
.LBB4_4:
	v_cvt_f32_u32_e32 v1, s18
	s_sub_i32 s4, 0, s18
	s_mov_b32 s21, 0
	v_rcp_iflag_f32_e32 v1, v1
	s_nop 0
	v_mul_f32_e32 v1, 0x4f7ffffe, v1
	v_cvt_u32_f32_e32 v1, v1
	s_nop 0
	v_readfirstlane_b32 s5, v1
	s_mul_i32 s4, s4, s5
	s_mul_hi_u32 s4, s5, s4
	s_add_i32 s5, s5, s4
	s_mul_hi_u32 s4, s16, s5
	s_mul_i32 s6, s4, s18
	s_sub_i32 s6, s16, s6
	s_add_i32 s5, s4, 1
	s_sub_i32 s7, s6, s18
	s_cmp_ge_u32 s6, s18
	s_cselect_b32 s4, s5, s4
	s_cselect_b32 s6, s7, s6
	s_add_i32 s5, s4, 1
	s_cmp_ge_u32 s6, s18
	s_cselect_b32 s20, s5, s4
.LBB4_5:
	s_abs_i32 s8, s28
	v_cvt_f32_u32_e32 v1, s8
	s_sub_i32 s26, 0, s8
	s_ashr_i32 s9, s28, 31
	s_load_dwordx2 s[24:25], s[0:1], 0x10
	s_load_dwordx4 s[4:7], s[0:1], 0x40
	v_rcp_iflag_f32_e32 v1, v1
	s_waitcnt lgkmcnt(0)
	s_load_dword s38, s[4:5], 0x0
	s_load_dword s33, s[6:7], 0x0
	v_mul_f32_e32 v1, 0x4f7ffffe, v1
	v_cvt_u32_f32_e32 v1, v1
	s_mul_hi_i32 s37, s28, s14
	v_mul_lo_u32 v2, s26, v1
	v_mul_hi_u32 v2, v1, v2
	v_add_u32_e32 v1, v1, v2
	v_mul_hi_u32 v1, v0, v1
	v_mul_lo_u32 v2, v1, s8
	v_sub_u32_e32 v2, v0, v2
	v_add_u32_e32 v3, 1, v1
	v_cmp_le_u32_e32 vcc, s8, v2
	s_mul_i32 s26, s12, s2
	s_nop 0
	v_cndmask_b32_e32 v1, v1, v3, vcc
	v_subrev_u32_e32 v3, s8, v2
	v_cndmask_b32_e32 v2, v2, v3, vcc
	v_add_u32_e32 v3, 1, v1
	v_cmp_le_u32_e32 vcc, s8, v2
	s_ashr_i32 s8, s12, 31
	s_mul_i32 s8, s8, s2
	v_cndmask_b32_e32 v1, v1, v3, vcc
	v_xor_b32_e32 v1, s9, v1
	v_subrev_u32_e32 v1, s9, v1
	s_mul_hi_u32 s9, s12, s2
	s_add_i32 s27, s9, s8
	v_mul_lo_u32 v2, v1, s28
	s_lshl_b64 s[8:9], s[26:27], 2
	v_sub_u32_e32 v3, v0, v2
	s_add_u32 s8, s22, s8
	v_mul_lo_u32 v4, v1, s15
	s_addc_u32 s9, s23, s9
	v_ashrrev_i32_e32 v5, 31, v4
	v_mul_lo_u32 v6, v3, s11
	v_lshl_add_u64 v[0:1], v[4:5], 2, s[8:9]
	v_ashrrev_i32_e32 v7, 31, v6
	v_lshl_add_u64 v[0:1], v[6:7], 2, v[0:1]
	s_ashr_i32 s39, s11, 31
	s_mul_i32 s8, s11, s10
	s_and_b32 s36, s11, 3
	v_mul_lo_u32 v8, s8, v2
	v_mul_lo_u32 v10, s8, v3
	v_and_b32_e32 v2, 15, v0
	v_mov_b32_e32 v3, 0
	s_cmp_lg_u32 s36, 0
	v_cmp_ne_u64_e32 vcc, 0, v[2:3]
	s_cselect_b64 s[14:15], -1, 0
	s_mov_b32 s12, s11
	v_ashrrev_i32_e32 v9, 31, v8
	v_ashrrev_i32_e32 v11, 31, v10
	s_or_b64 s[4:5], s[14:15], vcc
	s_and_saveexec_b64 s[6:7], s[4:5]
	s_xor_b64 s[28:29], exec, s[6:7]
	s_cbranch_execz .LBB4_16
; %bb.6:
	v_sub_u32_e32 v2, 0, v0
	v_bfe_u32 v2, v2, 2, 2
	v_min_i32_e32 v12, s11, v2
	v_cmp_lt_i32_e32 vcc, 0, v12
	s_and_saveexec_b64 s[4:5], vcc
	s_cbranch_execz .LBB4_9
; %bb.7:
	s_add_u32 s6, s3, -1
	s_addc_u32 s7, s37, -1
	s_mul_i32 s7, s20, s7
	s_mul_hi_u32 s8, s20, s6
	s_add_i32 s7, s8, s7
	s_mul_i32 s8, s21, s6
	s_mul_i32 s6, s20, s6
	s_add_i32 s7, s7, s8
	s_mul_i32 s8, s6, s19
	s_mul_hi_u32 s9, s6, s18
	s_add_i32 s8, s9, s8
	s_mul_i32 s7, s7, s18
	s_add_i32 s8, s8, s7
	s_mul_i32 s6, s6, s18
	s_add_u32 s6, s16, s6
	s_addc_u32 s7, s17, s8
	s_mul_i32 s7, s7, s12
	s_mul_i32 s8, s6, s39
	v_mov_b32_e32 v2, s12
	s_add_i32 s8, s8, s7
	v_mad_u64_u32 v[2:3], s[6:7], s6, v2, v[8:9]
	v_add_u32_e32 v3, s8, v3
	v_lshl_add_u64 v[2:3], v[2:3], 0, v[10:11]
	v_lshl_add_u64 v[2:3], s[24:25], 0, v[2:3]
	s_mov_b64 s[6:7], 0
	s_mov_b32 s8, 0x7f800000
	s_mov_b32 s9, 0x43700000
	v_mov_b32_e32 v13, 0xc3700000
	v_mov_b32_e32 v16, v12
	v_mov_b64_e32 v[14:15], v[0:1]
.LBB4_8:                                ; =>This Inner Loop Header: Depth=1
	global_load_dword v17, v[14:15], off
	v_mov_b32_e32 v18, 0
	v_add_u32_e32 v16, -1, v16
	v_lshl_add_u64 v[14:15], v[14:15], 0, 4
	s_waitcnt vmcnt(0) lgkmcnt(0)
	v_div_scale_f32 v19, s[30:31], s38, s38, v17
	v_rcp_f32_e32 v21, v19
	v_div_scale_f32 v20, vcc, v17, s38, v17
	v_fma_f32 v22, -v19, v21, 1.0
	v_fmac_f32_e32 v21, v22, v21
	v_mul_f32_e32 v22, v20, v21
	v_fma_f32 v23, -v19, v22, v20
	v_fmac_f32_e32 v22, v23, v21
	v_fma_f32 v19, -v19, v22, v20
	v_div_fmas_f32 v19, v19, v21, v22
	v_div_fixup_f32 v17, v19, s38, v17
	v_med3_f32 v19, v17, s9, v13
	v_cmp_nlg_f32_e64 vcc, |v17|, s8
	s_nop 1
	v_cndmask_b32_e32 v17, v19, v17, vcc
	v_cvt_pk_fp8_f32 v18, v17, v17
	v_cmp_eq_u32_e32 vcc, 0, v16
	s_or_b64 s[6:7], vcc, s[6:7]
	global_store_byte v[2:3], v18, off
	v_lshl_add_u64 v[2:3], v[2:3], 0, 1
	s_andn2_b64 exec, exec, s[6:7]
	s_cbranch_execnz .LBB4_8
.LBB4_9:
	s_or_b64 exec, exec, s[4:5]
	v_sub_u32_e32 v18, s11, v12
	v_ashrrev_i32_e32 v2, 31, v18
	v_lshrrev_b32_e32 v2, 30, v2
	v_add_u32_e32 v2, v18, v2
	v_ashrrev_i32_e32 v13, 31, v12
	v_ashrrev_i32_e32 v19, 2, v2
	v_cmp_lt_i32_e32 vcc, 3, v18
	s_and_saveexec_b64 s[30:31], vcc
	s_cbranch_execz .LBB4_12
; %bb.10:
	s_add_u32 s4, s3, -1
	s_addc_u32 s5, s37, -1
	s_mul_i32 s5, s20, s5
	s_mul_hi_u32 s6, s20, s4
	s_add_i32 s5, s6, s5
	s_mul_i32 s6, s21, s4
	s_mul_i32 s4, s20, s4
	s_add_i32 s5, s5, s6
	s_mul_i32 s6, s4, s19
	s_mul_hi_u32 s7, s4, s18
	s_add_i32 s6, s7, s6
	s_mul_i32 s5, s5, s18
	s_add_i32 s6, s6, s5
	s_mul_i32 s4, s4, s18
	s_add_u32 s4, s16, s4
	s_addc_u32 s5, s17, s6
	v_lshl_add_u64 v[14:15], v[12:13], 2, v[0:1]
	s_mul_i32 s5, s5, s12
	s_mul_i32 s6, s4, s39
	v_mov_b32_e32 v0, s12
	s_add_i32 s6, s6, s5
	v_mad_u64_u32 v[0:1], s[4:5], s4, v0, v[12:13]
	v_add_u32_e32 v1, s6, v1
	v_lshl_add_u64 v[0:1], v[0:1], 0, v[8:9]
	v_lshl_add_u64 v[0:1], v[0:1], 0, v[10:11]
	v_lshl_add_u64 v[16:17], s[24:25], 0, v[0:1]
	s_mov_b64 s[34:35], 0
	s_mov_b32 s40, 0x7f800000
	s_mov_b32 s41, 0x43700000
	v_mov_b32_e32 v20, 0xc3700000
	s_mov_b32 s42, 0x4020c0c
	v_mov_b32_e32 v21, v19
.LBB4_11:                               ; =>This Inner Loop Header: Depth=1
	global_load_dwordx4 v[0:3], v[14:15], off
	v_add_u32_e32 v21, -1, v21
	v_cmp_eq_u32_e32 vcc, 0, v21
	s_or_b64 s[34:35], vcc, s[34:35]
	v_mov_b32_e32 v22, 0
	v_mov_b32_e32 v23, 0
	;; [unrolled: 1-line block ×4, first 2 shown]
	v_lshl_add_u64 v[14:15], v[14:15], 0, 16
	s_waitcnt vmcnt(0) lgkmcnt(0)
	v_div_scale_f32 v26, s[4:5], s38, s38, v0
	v_div_scale_f32 v28, s[4:5], s38, s38, v1
	v_rcp_f32_e32 v34, v26
	v_div_scale_f32 v30, s[6:7], s38, s38, v2
	v_rcp_f32_e32 v35, v28
	v_rcp_f32_e32 v36, v30
	v_div_scale_f32 v32, s[8:9], s38, s38, v3
	v_rcp_f32_e32 v37, v32
	v_fma_f32 v38, -v26, v34, 1.0
	v_div_scale_f32 v27, vcc, v0, s38, v0
	v_fma_f32 v39, -v28, v35, 1.0
	v_fmac_f32_e32 v34, v38, v34
	v_div_scale_f32 v29, s[4:5], v1, s38, v1
	v_fma_f32 v40, -v30, v36, 1.0
	v_fmac_f32_e32 v35, v39, v35
	v_mul_f32_e32 v38, v27, v34
	v_div_scale_f32 v31, s[6:7], v2, s38, v2
	v_fmac_f32_e32 v36, v40, v36
	v_mul_f32_e32 v39, v29, v35
	v_fma_f32 v42, -v26, v38, v27
	v_fma_f32 v41, -v32, v37, 1.0
	v_mul_f32_e32 v40, v31, v36
	v_fma_f32 v43, -v28, v39, v29
	v_fmac_f32_e32 v38, v42, v34
	v_div_scale_f32 v33, s[8:9], v3, s38, v3
	v_fmac_f32_e32 v37, v41, v37
	v_fma_f32 v44, -v30, v40, v31
	v_fmac_f32_e32 v39, v43, v35
	v_fma_f32 v26, -v26, v38, v27
	v_mul_f32_e32 v41, v33, v37
	v_fmac_f32_e32 v40, v44, v36
	v_fma_f32 v27, -v28, v39, v29
	v_div_fmas_f32 v26, v26, v34, v38
	s_mov_b64 vcc, s[4:5]
	v_fma_f32 v45, -v32, v41, v33
	v_fma_f32 v28, -v30, v40, v31
	v_div_fixup_f32 v0, v26, s38, v0
	v_div_fmas_f32 v26, v27, v35, v39
	s_mov_b64 vcc, s[6:7]
	v_fmac_f32_e32 v41, v45, v37
	v_med3_f32 v27, v0, s41, v20
	v_div_fixup_f32 v1, v26, s38, v1
	v_div_fmas_f32 v26, v28, v36, v40
	v_cmp_nlg_f32_e64 vcc, |v0|, s40
	v_fma_f32 v29, -v32, v41, v33
	v_div_fixup_f32 v2, v26, s38, v2
	v_cndmask_b32_e32 v0, v27, v0, vcc
	s_mov_b64 vcc, s[8:9]
	v_med3_f32 v27, v1, s41, v20
	v_div_fmas_f32 v26, v29, v37, v41
	v_cmp_nlg_f32_e64 vcc, |v1|, s40
	v_cvt_pk_fp8_f32 v22, v0, v0
	v_div_fixup_f32 v3, v26, s38, v3
	v_cndmask_b32_e32 v0, v27, v1, vcc
	v_med3_f32 v1, v2, s41, v20
	v_cmp_nlg_f32_e64 vcc, |v2|, s40
	v_cvt_pk_fp8_f32 v23, v0, v0
	s_nop 0
	v_cndmask_b32_e32 v0, v1, v2, vcc
	v_med3_f32 v1, v3, s41, v20
	v_cmp_nlg_f32_e64 vcc, |v3|, s40
	v_cvt_pk_fp8_f32 v24, v0, v0
	v_lshlrev_b32_e32 v2, 16, v24
	v_cndmask_b32_e32 v0, v1, v3, vcc
	v_cvt_pk_fp8_f32 v25, v0, v0
	v_lshlrev_b32_e32 v1, 8, v23
	v_and_b32_e32 v0, 0xff, v22
	v_and_b32_e32 v1, 0xff00, v1
	v_perm_b32 v2, v25, v2, s42
	v_or3_b32 v0, v2, v1, v0
	global_store_dword v[16:17], v0, off
	v_lshl_add_u64 v[16:17], v[16:17], 0, 4
	s_andn2_b64 exec, exec, s[34:35]
	s_cbranch_execnz .LBB4_11
.LBB4_12:
	s_or_b64 exec, exec, s[30:31]
	v_lshlrev_b32_e32 v0, 2, v19
	v_cmp_lt_i32_e32 vcc, v0, v18
	s_and_saveexec_b64 s[4:5], vcc
	s_cbranch_execz .LBB4_15
; %bb.13:
	s_add_u32 s6, s3, -1
	s_addc_u32 s7, s37, -1
	s_mul_i32 s7, s20, s7
	s_mul_hi_u32 s8, s20, s6
	s_add_i32 s7, s8, s7
	s_mul_i32 s8, s21, s6
	s_mul_i32 s6, s20, s6
	s_add_i32 s7, s7, s8
	s_mul_i32 s8, s6, s19
	s_mul_hi_u32 s9, s6, s18
	s_add_i32 s8, s9, s8
	s_mul_i32 s7, s7, s18
	s_add_i32 s8, s8, s7
	s_mul_i32 s6, s6, s18
	s_add_u32 s6, s16, s6
	s_addc_u32 s7, s17, s8
	s_mul_i32 s7, s7, s12
	s_mul_i32 s8, s6, s39
	v_mov_b32_e32 v14, s12
	v_lshlrev_b64 v[2:3], 2, v[12:13]
	s_add_i32 s8, s8, s7
	v_mad_u64_u32 v[12:13], s[6:7], s6, v14, v[12:13]
	v_lshl_add_u64 v[2:3], s[26:27], 2, v[2:3]
	v_add_u32_e32 v13, s8, v13
	v_lshl_add_u64 v[2:3], v[6:7], 2, v[2:3]
	v_lshl_add_u64 v[12:13], v[12:13], 0, v[8:9]
	;; [unrolled: 1-line block ×3, first 2 shown]
	v_ashrrev_i32_e32 v1, 31, v0
	v_lshl_add_u64 v[10:11], v[12:13], 0, v[10:11]
	v_lshl_add_u64 v[2:3], v[0:1], 2, v[2:3]
	;; [unrolled: 1-line block ×5, first 2 shown]
	s_mov_b64 s[6:7], 0
	s_mov_b32 s8, 0x7f800000
	s_mov_b32 s9, 0x43700000
	v_mov_b32_e32 v1, 0xc3700000
.LBB4_14:                               ; =>This Inner Loop Header: Depth=1
	global_load_dword v12, v[2:3], off
	v_mov_b32_e32 v13, 0
	v_add_u32_e32 v0, 1, v0
	v_lshl_add_u64 v[2:3], v[2:3], 0, 4
	s_waitcnt vmcnt(0) lgkmcnt(0)
	v_div_scale_f32 v14, s[30:31], s38, s38, v12
	v_rcp_f32_e32 v16, v14
	v_div_scale_f32 v15, vcc, v12, s38, v12
	v_fma_f32 v17, -v14, v16, 1.0
	v_fmac_f32_e32 v16, v17, v16
	v_mul_f32_e32 v17, v15, v16
	v_fma_f32 v19, -v14, v17, v15
	v_fmac_f32_e32 v17, v19, v16
	v_fma_f32 v14, -v14, v17, v15
	v_div_fmas_f32 v14, v14, v16, v17
	v_div_fixup_f32 v12, v14, s38, v12
	v_med3_f32 v14, v12, s9, v1
	v_cmp_nlg_f32_e64 vcc, |v12|, s8
	s_nop 1
	v_cndmask_b32_e32 v12, v14, v12, vcc
	v_cvt_pk_fp8_f32 v13, v12, v12
	v_cmp_ge_i32_e32 vcc, v0, v18
	s_or_b64 s[6:7], vcc, s[6:7]
	global_store_byte v[10:11], v13, off
	v_lshl_add_u64 v[10:11], v[10:11], 0, 1
	s_andn2_b64 exec, exec, s[6:7]
	s_cbranch_execnz .LBB4_14
.LBB4_15:
	s_or_b64 exec, exec, s[4:5]
                                        ; implicit-def: $vgpr10_vgpr11
.LBB4_16:
	s_andn2_saveexec_b64 s[28:29], s[28:29]
	s_cbranch_execz .LBB4_20
; %bb.17:
	s_ashr_i32 s30, s11, 2
	s_cmp_lt_i32 s30, 1
	s_cbranch_scc1 .LBB4_20
; %bb.18:
	s_add_u32 s4, s3, -1
	s_addc_u32 s5, s37, -1
	s_mul_i32 s5, s20, s5
	s_mul_hi_u32 s6, s20, s4
	s_add_i32 s5, s6, s5
	s_mul_i32 s6, s21, s4
	s_mul_i32 s4, s20, s4
	s_add_i32 s5, s5, s6
	s_mul_i32 s6, s4, s19
	s_mul_hi_u32 s7, s4, s18
	s_add_i32 s6, s7, s6
	s_mul_i32 s5, s5, s18
	s_add_i32 s6, s6, s5
	s_mul_i32 s4, s4, s18
	s_add_u32 s4, s16, s4
	s_addc_u32 s5, s17, s6
	s_mul_i32 s5, s5, s12
	s_mul_i32 s6, s4, s39
	v_mov_b32_e32 v0, s12
	s_add_i32 s6, s6, s5
	v_mad_u64_u32 v[0:1], s[4:5], s4, v0, v[8:9]
	v_add_u32_e32 v1, s6, v1
	v_lshl_add_u64 v[0:1], v[0:1], 0, v[10:11]
	v_lshl_add_u64 v[10:11], s[24:25], 0, v[0:1]
	v_lshlrev_b64 v[0:1], 2, v[6:7]
	v_lshl_add_u64 v[0:1], s[26:27], 2, v[0:1]
	v_lshl_add_u64 v[0:1], v[4:5], 2, v[0:1]
	;; [unrolled: 1-line block ×4, first 2 shown]
	s_mov_b32 s22, 0x7f800000
	s_mov_b32 s23, 0x43700000
	v_mov_b32_e32 v14, 0xc3700000
	s_mov_b32 s24, 0x4020c0c
.LBB4_19:                               ; =>This Inner Loop Header: Depth=1
	global_load_dwordx4 v[0:3], v[12:13], off offset:-8
	v_mov_b32_e32 v15, 0
	v_mov_b32_e32 v16, 0
	;; [unrolled: 1-line block ×4, first 2 shown]
	s_add_i32 s30, s30, -1
	v_lshl_add_u64 v[12:13], v[12:13], 0, 16
	s_cmp_eq_u32 s30, 0
	s_waitcnt vmcnt(0) lgkmcnt(0)
	v_div_scale_f32 v19, s[4:5], s38, s38, v0
	v_div_scale_f32 v21, s[4:5], s38, s38, v1
	v_rcp_f32_e32 v27, v19
	v_div_scale_f32 v23, s[6:7], s38, s38, v2
	v_rcp_f32_e32 v28, v21
	v_rcp_f32_e32 v29, v23
	v_div_scale_f32 v25, s[8:9], s38, s38, v3
	v_rcp_f32_e32 v30, v25
	v_fma_f32 v31, -v19, v27, 1.0
	v_div_scale_f32 v20, vcc, v0, s38, v0
	v_fma_f32 v32, -v21, v28, 1.0
	v_fmac_f32_e32 v27, v31, v27
	v_div_scale_f32 v22, s[4:5], v1, s38, v1
	v_fma_f32 v33, -v23, v29, 1.0
	v_fmac_f32_e32 v28, v32, v28
	v_mul_f32_e32 v31, v20, v27
	v_div_scale_f32 v24, s[6:7], v2, s38, v2
	v_fmac_f32_e32 v29, v33, v29
	v_mul_f32_e32 v32, v22, v28
	v_fma_f32 v35, -v19, v31, v20
	v_fma_f32 v34, -v25, v30, 1.0
	v_mul_f32_e32 v33, v24, v29
	v_fma_f32 v36, -v21, v32, v22
	v_fmac_f32_e32 v31, v35, v27
	v_div_scale_f32 v26, s[8:9], v3, s38, v3
	v_fmac_f32_e32 v30, v34, v30
	v_fma_f32 v37, -v23, v33, v24
	v_fmac_f32_e32 v32, v36, v28
	v_fma_f32 v19, -v19, v31, v20
	v_mul_f32_e32 v34, v26, v30
	v_fmac_f32_e32 v33, v37, v29
	v_fma_f32 v20, -v21, v32, v22
	v_div_fmas_f32 v19, v19, v27, v31
	s_mov_b64 vcc, s[4:5]
	v_fma_f32 v38, -v25, v34, v26
	v_fma_f32 v21, -v23, v33, v24
	v_div_fixup_f32 v0, v19, s38, v0
	v_div_fmas_f32 v19, v20, v28, v32
	s_mov_b64 vcc, s[6:7]
	v_fmac_f32_e32 v34, v38, v30
	v_med3_f32 v20, v0, s23, v14
	v_div_fixup_f32 v1, v19, s38, v1
	v_div_fmas_f32 v19, v21, v29, v33
	v_cmp_nlg_f32_e64 vcc, |v0|, s22
	v_fma_f32 v22, -v25, v34, v26
	v_div_fixup_f32 v2, v19, s38, v2
	v_cndmask_b32_e32 v0, v20, v0, vcc
	s_mov_b64 vcc, s[8:9]
	v_med3_f32 v20, v1, s23, v14
	v_div_fmas_f32 v19, v22, v30, v34
	v_cmp_nlg_f32_e64 vcc, |v1|, s22
	v_cvt_pk_fp8_f32 v15, v0, v0
	v_div_fixup_f32 v3, v19, s38, v3
	v_cndmask_b32_e32 v0, v20, v1, vcc
	v_med3_f32 v1, v2, s23, v14
	v_cmp_nlg_f32_e64 vcc, |v2|, s22
	v_cvt_pk_fp8_f32 v16, v0, v0
	s_nop 0
	v_cndmask_b32_e32 v0, v1, v2, vcc
	v_med3_f32 v1, v3, s23, v14
	v_cmp_nlg_f32_e64 vcc, |v3|, s22
	v_cvt_pk_fp8_f32 v17, v0, v0
	v_lshlrev_b32_e32 v2, 16, v17
	v_cndmask_b32_e32 v0, v1, v3, vcc
	v_cvt_pk_fp8_f32 v18, v0, v0
	v_lshlrev_b32_e32 v1, 8, v16
	v_and_b32_e32 v0, 0xff, v15
	v_and_b32_e32 v1, 0xff00, v1
	v_perm_b32 v2, v18, v2, s24
	v_or3_b32 v0, v2, v1, v0
	global_store_dword v[10:11], v0, off
	v_lshl_add_u64 v[10:11], v[10:11], 0, 4
	s_cbranch_scc0 .LBB4_19
.LBB4_20:
	s_or_b64 exec, exec, s[28:29]
	s_cmp_lt_i32 s11, 1
	s_cbranch_scc1 .LBB4_27
; %bb.21:
	s_load_dwordx2 s[6:7], s[0:1], 0x8
	s_load_dwordx2 s[4:5], s[0:1], 0x18
	s_mul_i32 s0, s20, s19
	s_mul_hi_u32 s1, s20, s18
	s_add_i32 s0, s1, s0
	s_mul_i32 s1, s21, s18
	s_add_i32 s1, s0, s1
	s_mul_i32 s0, s20, s18
	s_sub_u32 s0, s16, s0
	s_mul_i32 s8, s3, s21
	s_mul_hi_u32 s9, s3, s20
	s_subb_u32 s1, s17, s1
	s_add_i32 s8, s9, s8
	s_mul_i32 s37, s37, s20
	s_add_i32 s8, s8, s37
	s_mul_i32 s3, s3, s20
	s_mul_hi_i32 s9, s12, s18
	s_mul_i32 s12, s12, s18
	s_mul_hi_u32 s16, s12, s3
	s_mul_i32 s8, s12, s8
	s_add_i32 s8, s16, s8
	s_mul_i32 s9, s9, s3
	s_add_i32 s8, s8, s9
	s_mul_i32 s12, s12, s3
	s_waitcnt lgkmcnt(0)
	s_add_u32 s4, s4, s12
	v_mul_lo_u32 v0, v6, s10
	s_addc_u32 s5, s5, s8
	v_ashrrev_i32_e32 v1, 31, v0
	v_lshl_add_u64 v[2:3], s[4:5], 0, v[8:9]
	v_lshl_add_u64 v[0:1], v[2:3], 0, v[0:1]
	s_ashr_i32 s9, s13, 31
	v_lshl_add_u64 v[8:9], v[0:1], 0, s[0:1]
	s_mov_b32 s8, 0
	s_cmp_lt_u32 s11, 4
	s_mul_i32 s9, s9, s2
	s_mul_hi_u32 s18, s13, s2
	s_mul_i32 s12, s13, s2
	v_lshlrev_b64 v[6:7], 2, v[6:7]
	s_cbranch_scc1 .LBB4_24
; %bb.22:
	s_add_i32 s13, s18, s9
	v_lshl_add_u64 v[0:1], s[12:13], 2, v[6:7]
	v_lshl_add_u64 v[0:1], v[4:5], 2, v[0:1]
	;; [unrolled: 1-line block ×3, first 2 shown]
	s_and_b32 s8, s11, 0x7ffffffc
	s_lshl_b32 s11, s10, 2
	s_lshl_b32 s19, s10, 1
	s_mul_i32 s20, s10, 3
	v_lshl_add_u64 v[10:11], v[0:1], 0, 8
	s_mov_b32 s16, 0
	s_mov_b32 s13, 0x7f800000
	;; [unrolled: 1-line block ×3, first 2 shown]
	v_mov_b32_e32 v12, 0xc3700000
	s_mov_b32 s22, 0
.LBB4_23:                               ; =>This Inner Loop Header: Depth=1
	global_load_dwordx4 v[0:3], v[10:11], off offset:-8
	s_add_i32 s0, s10, s16
	s_ashr_i32 s1, s0, 31
	s_add_i32 s2, s19, s16
	v_lshl_add_u64 v[16:17], v[8:9], 0, s[0:1]
	s_ashr_i32 s3, s2, 31
	s_add_i32 s4, s20, s16
	v_lshl_add_u64 v[18:19], v[8:9], 0, s[2:3]
	s_ashr_i32 s5, s4, 31
	v_lshl_add_u64 v[20:21], v[8:9], 0, s[4:5]
	v_mov_b32_e32 v13, 0
	v_mov_b32_e32 v22, 0
	s_ashr_i32 s17, s16, 31
	v_mov_b32_e32 v23, 0
	v_mov_b32_e32 v24, 0
	s_add_i32 s22, s22, 4
	v_lshl_add_u64 v[14:15], v[8:9], 0, s[16:17]
	s_add_i32 s16, s16, s11
	v_lshl_add_u64 v[10:11], v[10:11], 0, 16
	s_cmp_lg_u32 s8, s22
	s_waitcnt vmcnt(0)
	v_div_scale_f32 v25, s[0:1], s33, s33, v0
	v_div_scale_f32 v27, s[0:1], s33, s33, v1
	v_rcp_f32_e32 v33, v25
	v_div_scale_f32 v29, s[2:3], s33, s33, v2
	v_rcp_f32_e32 v34, v27
	v_rcp_f32_e32 v35, v29
	v_div_scale_f32 v31, s[4:5], s33, s33, v3
	v_rcp_f32_e32 v36, v31
	v_fma_f32 v37, -v25, v33, 1.0
	v_div_scale_f32 v26, vcc, v0, s33, v0
	v_fma_f32 v38, -v27, v34, 1.0
	v_fmac_f32_e32 v33, v37, v33
	v_div_scale_f32 v28, s[0:1], v1, s33, v1
	v_fma_f32 v39, -v29, v35, 1.0
	v_fmac_f32_e32 v34, v38, v34
	v_mul_f32_e32 v37, v26, v33
	v_div_scale_f32 v30, s[2:3], v2, s33, v2
	v_fmac_f32_e32 v35, v39, v35
	v_mul_f32_e32 v38, v28, v34
	v_fma_f32 v41, -v25, v37, v26
	v_fma_f32 v40, -v31, v36, 1.0
	v_mul_f32_e32 v39, v30, v35
	v_fma_f32 v42, -v27, v38, v28
	v_fmac_f32_e32 v37, v41, v33
	v_div_scale_f32 v32, s[4:5], v3, s33, v3
	v_fmac_f32_e32 v36, v40, v36
	v_fma_f32 v43, -v29, v39, v30
	v_fmac_f32_e32 v38, v42, v34
	v_fma_f32 v25, -v25, v37, v26
	v_mul_f32_e32 v40, v32, v36
	v_fmac_f32_e32 v39, v43, v35
	v_fma_f32 v26, -v27, v38, v28
	v_div_fmas_f32 v25, v25, v33, v37
	s_mov_b64 vcc, s[0:1]
	v_fma_f32 v44, -v31, v40, v32
	v_fma_f32 v27, -v29, v39, v30
	v_div_fixup_f32 v0, v25, s33, v0
	v_div_fmas_f32 v25, v26, v34, v38
	s_mov_b64 vcc, s[2:3]
	v_fmac_f32_e32 v40, v44, v36
	v_med3_f32 v26, v0, s21, v12
	v_div_fixup_f32 v1, v25, s33, v1
	v_div_fmas_f32 v25, v27, v35, v39
	v_cmp_nlg_f32_e64 vcc, |v0|, s13
	v_fma_f32 v28, -v31, v40, v32
	v_div_fixup_f32 v2, v25, s33, v2
	v_cndmask_b32_e32 v0, v26, v0, vcc
	s_mov_b64 vcc, s[4:5]
	v_med3_f32 v26, v1, s21, v12
	v_div_fmas_f32 v25, v28, v36, v40
	v_cmp_nlg_f32_e64 vcc, |v1|, s13
	v_cvt_pk_fp8_f32 v13, v0, v0
	v_div_fixup_f32 v3, v25, s33, v3
	v_cndmask_b32_e32 v0, v26, v1, vcc
	v_med3_f32 v1, v2, s21, v12
	v_cmp_nlg_f32_e64 vcc, |v2|, s13
	v_cvt_pk_fp8_f32 v22, v0, v0
	s_nop 0
	v_cndmask_b32_e32 v0, v1, v2, vcc
	v_med3_f32 v1, v3, s21, v12
	v_cmp_nlg_f32_e64 vcc, |v3|, s13
	v_cvt_pk_fp8_f32 v23, v0, v0
	s_nop 0
	v_cndmask_b32_e32 v0, v1, v3, vcc
	v_cvt_pk_fp8_f32 v24, v0, v0
	global_store_byte v[14:15], v13, off
	global_store_byte v[16:17], v22, off
	;; [unrolled: 1-line block ×4, first 2 shown]
	s_cbranch_scc1 .LBB4_23
.LBB4_24:
	s_andn2_b64 vcc, exec, s[14:15]
	s_cbranch_vccnz .LBB4_27
; %bb.25:
	s_add_i32 s13, s18, s9
	s_mov_b32 s9, 0
	s_lshl_b64 s[0:1], s[8:9], 2
	v_lshl_add_u64 v[0:1], s[12:13], 2, v[6:7]
	s_add_u32 s0, s6, s0
	v_lshl_add_u64 v[0:1], v[4:5], 2, v[0:1]
	s_addc_u32 s1, s7, s1
	v_lshl_add_u64 v[0:1], s[0:1], 0, v[0:1]
	s_mul_i32 s0, s8, s10
	s_mov_b32 s2, 0x7f800000
	s_mov_b32 s3, 0x43700000
	v_mov_b32_e32 v2, 0xc3700000
.LBB4_26:                               ; =>This Inner Loop Header: Depth=1
	global_load_dword v3, v[0:1], off
	v_mov_b32_e32 v6, 0
	s_ashr_i32 s1, s0, 31
	s_add_i32 s36, s36, -1
	v_lshl_add_u64 v[0:1], v[0:1], 0, 4
	s_waitcnt vmcnt(0)
	v_div_scale_f32 v4, s[4:5], s33, s33, v3
	v_rcp_f32_e32 v5, v4
	v_div_scale_f32 v7, vcc, v3, s33, v3
	v_fma_f32 v10, -v4, v5, 1.0
	v_fmac_f32_e32 v5, v10, v5
	v_mul_f32_e32 v10, v7, v5
	v_fma_f32 v11, -v4, v10, v7
	v_fmac_f32_e32 v10, v11, v5
	v_fma_f32 v4, -v4, v10, v7
	v_div_fmas_f32 v4, v4, v5, v10
	v_div_fixup_f32 v3, v4, s33, v3
	v_med3_f32 v4, v3, s3, v2
	v_cmp_nlg_f32_e64 vcc, |v3|, s2
	s_nop 1
	v_cndmask_b32_e32 v3, v4, v3, vcc
	v_cvt_pk_fp8_f32 v6, v3, v3
	v_lshl_add_u64 v[4:5], v[8:9], 0, s[0:1]
	s_add_i32 s0, s0, s10
	s_cmp_lg_u32 s36, 0
	global_store_byte v[4:5], v6, off
	s_cbranch_scc1 .LBB4_26
.LBB4_27:
	s_endpgm
.LBB4_28:
                                        ; implicit-def: $sgpr20_sgpr21
	s_branch .LBB4_4
	.section	.rodata,"a",@progbits
	.p2align	6, 0x0
	.amdhsa_kernel _ZN4vllm24reshape_and_cache_kernelIfhLNS_18Fp8KVCacheDataTypeE1EEEvPKT_S4_PT0_S6_PKliiiiiiPKfSA_
		.amdhsa_group_segment_fixed_size 0
		.amdhsa_private_segment_fixed_size 0
		.amdhsa_kernarg_size 80
		.amdhsa_user_sgpr_count 2
		.amdhsa_user_sgpr_dispatch_ptr 0
		.amdhsa_user_sgpr_queue_ptr 0
		.amdhsa_user_sgpr_kernarg_segment_ptr 1
		.amdhsa_user_sgpr_dispatch_id 0
		.amdhsa_user_sgpr_kernarg_preload_length 0
		.amdhsa_user_sgpr_kernarg_preload_offset 0
		.amdhsa_user_sgpr_private_segment_size 0
		.amdhsa_uses_dynamic_stack 0
		.amdhsa_enable_private_segment 0
		.amdhsa_system_sgpr_workgroup_id_x 1
		.amdhsa_system_sgpr_workgroup_id_y 0
		.amdhsa_system_sgpr_workgroup_id_z 0
		.amdhsa_system_sgpr_workgroup_info 0
		.amdhsa_system_vgpr_workitem_id 0
		.amdhsa_next_free_vgpr 46
		.amdhsa_next_free_sgpr 43
		.amdhsa_accum_offset 48
		.amdhsa_reserve_vcc 1
		.amdhsa_float_round_mode_32 0
		.amdhsa_float_round_mode_16_64 0
		.amdhsa_float_denorm_mode_32 3
		.amdhsa_float_denorm_mode_16_64 3
		.amdhsa_dx10_clamp 1
		.amdhsa_ieee_mode 1
		.amdhsa_fp16_overflow 0
		.amdhsa_tg_split 0
		.amdhsa_exception_fp_ieee_invalid_op 0
		.amdhsa_exception_fp_denorm_src 0
		.amdhsa_exception_fp_ieee_div_zero 0
		.amdhsa_exception_fp_ieee_overflow 0
		.amdhsa_exception_fp_ieee_underflow 0
		.amdhsa_exception_fp_ieee_inexact 0
		.amdhsa_exception_int_div_zero 0
	.end_amdhsa_kernel
	.section	.text._ZN4vllm24reshape_and_cache_kernelIfhLNS_18Fp8KVCacheDataTypeE1EEEvPKT_S4_PT0_S6_PKliiiiiiPKfSA_,"axG",@progbits,_ZN4vllm24reshape_and_cache_kernelIfhLNS_18Fp8KVCacheDataTypeE1EEEvPKT_S4_PT0_S6_PKliiiiiiPKfSA_,comdat
.Lfunc_end4:
	.size	_ZN4vllm24reshape_and_cache_kernelIfhLNS_18Fp8KVCacheDataTypeE1EEEvPKT_S4_PT0_S6_PKliiiiiiPKfSA_, .Lfunc_end4-_ZN4vllm24reshape_and_cache_kernelIfhLNS_18Fp8KVCacheDataTypeE1EEEvPKT_S4_PT0_S6_PKliiiiiiPKfSA_
                                        ; -- End function
	.section	.AMDGPU.csdata,"",@progbits
; Kernel info:
; codeLenInByte = 4480
; NumSgprs: 49
; NumVgprs: 46
; NumAgprs: 0
; TotalNumVgprs: 46
; ScratchSize: 0
; MemoryBound: 0
; FloatMode: 240
; IeeeMode: 1
; LDSByteSize: 0 bytes/workgroup (compile time only)
; SGPRBlocks: 6
; VGPRBlocks: 5
; NumSGPRsForWavesPerEU: 49
; NumVGPRsForWavesPerEU: 46
; AccumOffset: 48
; Occupancy: 8
; WaveLimiterHint : 0
; COMPUTE_PGM_RSRC2:SCRATCH_EN: 0
; COMPUTE_PGM_RSRC2:USER_SGPR: 2
; COMPUTE_PGM_RSRC2:TRAP_HANDLER: 0
; COMPUTE_PGM_RSRC2:TGID_X_EN: 1
; COMPUTE_PGM_RSRC2:TGID_Y_EN: 0
; COMPUTE_PGM_RSRC2:TGID_Z_EN: 0
; COMPUTE_PGM_RSRC2:TIDIG_COMP_CNT: 0
; COMPUTE_PGM_RSRC3_GFX90A:ACCUM_OFFSET: 11
; COMPUTE_PGM_RSRC3_GFX90A:TG_SPLIT: 0
	.section	.text._ZN4vllm24reshape_and_cache_kernelIthLNS_18Fp8KVCacheDataTypeE1EEEvPKT_S4_PT0_S6_PKliiiiiiPKfSA_,"axG",@progbits,_ZN4vllm24reshape_and_cache_kernelIthLNS_18Fp8KVCacheDataTypeE1EEEvPKT_S4_PT0_S6_PKliiiiiiPKfSA_,comdat
	.protected	_ZN4vllm24reshape_and_cache_kernelIthLNS_18Fp8KVCacheDataTypeE1EEEvPKT_S4_PT0_S6_PKliiiiiiPKfSA_ ; -- Begin function _ZN4vllm24reshape_and_cache_kernelIthLNS_18Fp8KVCacheDataTypeE1EEEvPKT_S4_PT0_S6_PKliiiiiiPKfSA_
	.globl	_ZN4vllm24reshape_and_cache_kernelIthLNS_18Fp8KVCacheDataTypeE1EEEvPKT_S4_PT0_S6_PKliiiiiiPKfSA_
	.p2align	8
	.type	_ZN4vllm24reshape_and_cache_kernelIthLNS_18Fp8KVCacheDataTypeE1EEEvPKT_S4_PT0_S6_PKliiiiiiPKfSA_,@function
_ZN4vllm24reshape_and_cache_kernelIthLNS_18Fp8KVCacheDataTypeE1EEEvPKT_S4_PT0_S6_PKliiiiiiPKfSA_: ; @_ZN4vllm24reshape_and_cache_kernelIthLNS_18Fp8KVCacheDataTypeE1EEEvPKT_S4_PT0_S6_PKliiiiiiPKfSA_
; %bb.0:
	s_load_dwordx2 s[4:5], s[0:1], 0x20
	s_mov_b32 s3, 0
	s_lshl_b64 s[6:7], s[2:3], 3
	s_waitcnt lgkmcnt(0)
	s_add_u32 s4, s4, s6
	s_addc_u32 s5, s5, s7
	s_load_dwordx2 s[14:15], s[4:5], 0x0
	s_waitcnt lgkmcnt(0)
	v_cmp_lt_i64_e64 s[4:5], s[14:15], 0
	s_and_b64 vcc, exec, s[4:5]
	s_cbranch_vccnz .LBB5_27
; %bb.1:
	s_load_dwordx2 s[12:13], s[0:1], 0x38
	s_load_dwordx4 s[8:11], s[0:1], 0x28
	s_waitcnt lgkmcnt(0)
	s_abs_i32 s3, s13
	v_cvt_f32_u32_e32 v1, s3
	s_sub_i32 s6, 0, s3
	s_abs_i32 s5, s11
	s_xor_b32 s4, s11, s13
	v_rcp_iflag_f32_e32 v1, v1
	s_ashr_i32 s4, s4, 31
	v_mul_f32_e32 v1, 0x4f7ffffe, v1
	v_cvt_u32_f32_e32 v1, v1
	s_nop 0
	v_readfirstlane_b32 s7, v1
	s_mul_i32 s6, s6, s7
	s_mul_hi_u32 s6, s7, s6
	s_add_i32 s7, s7, s6
	s_mul_hi_u32 s6, s5, s7
	s_mul_i32 s7, s6, s3
	s_sub_i32 s5, s5, s7
	s_add_i32 s16, s6, 1
	s_sub_i32 s7, s5, s3
	s_cmp_ge_u32 s5, s3
	s_cselect_b32 s6, s16, s6
	s_cselect_b32 s5, s7, s5
	s_add_i32 s7, s6, 1
	s_cmp_ge_u32 s5, s3
	s_cselect_b32 s3, s7, s6
	s_xor_b32 s3, s3, s4
	s_sub_i32 s26, s3, s4
	s_mul_i32 s3, s26, s10
	v_cmp_gt_i32_e32 vcc, s3, v0
	s_and_saveexec_b64 s[4:5], vcc
	s_cbranch_execz .LBB5_27
; %bb.2:
	s_load_dwordx2 s[20:21], s[0:1], 0x0
	s_ashr_i32 s17, s12, 31
	s_mov_b32 s16, s12
	s_or_b64 s[4:5], s[14:15], s[16:17]
	s_mov_b32 s4, 0
	s_cmp_lg_u64 s[4:5], 0
	s_cbranch_scc0 .LBB5_28
; %bb.3:
	s_add_u32 s4, s16, s17
	s_mov_b32 s18, s17
	s_mov_b32 s19, s17
	s_addc_u32 s5, s17, s17
	s_xor_b64 s[22:23], s[4:5], s[18:19]
	v_cvt_f32_u32_e32 v1, s22
	v_cvt_f32_u32_e32 v2, s23
	s_sub_u32 s4, 0, s22
	s_subb_u32 s5, 0, s23
	v_fmamk_f32 v1, v2, 0x4f800000, v1
	v_rcp_f32_e32 v1, v1
	s_nop 0
	v_mul_f32_e32 v1, 0x5f7ffffc, v1
	v_mul_f32_e32 v2, 0x2f800000, v1
	v_trunc_f32_e32 v2, v2
	v_fmamk_f32 v1, v2, 0xcf800000, v1
	v_cvt_u32_f32_e32 v2, v2
	v_cvt_u32_f32_e32 v1, v1
	v_readfirstlane_b32 s24, v2
	v_readfirstlane_b32 s25, v1
	s_mul_i32 s27, s4, s24
	s_mul_hi_u32 s29, s4, s25
	s_mul_i32 s28, s5, s25
	s_add_i32 s27, s29, s27
	s_add_i32 s27, s27, s28
	s_mul_i32 s30, s4, s25
	s_mul_hi_u32 s28, s25, s27
	s_mul_i32 s29, s25, s27
	s_mul_hi_u32 s25, s25, s30
	s_add_u32 s25, s25, s29
	s_addc_u32 s28, 0, s28
	s_mul_hi_u32 s31, s24, s30
	s_mul_i32 s30, s24, s30
	s_add_u32 s25, s25, s30
	s_mul_hi_u32 s29, s24, s27
	s_addc_u32 s25, s28, s31
	s_addc_u32 s28, s29, 0
	s_mul_i32 s27, s24, s27
	s_add_u32 s25, s25, s27
	s_addc_u32 s27, 0, s28
	v_add_co_u32_e32 v1, vcc, s25, v1
	s_cmp_lg_u64 vcc, 0
	s_addc_u32 s24, s24, s27
	v_readfirstlane_b32 s27, v1
	s_mul_i32 s25, s4, s24
	s_mul_hi_u32 s28, s4, s27
	s_add_i32 s25, s28, s25
	s_mul_i32 s5, s5, s27
	s_add_i32 s25, s25, s5
	s_mul_i32 s4, s4, s27
	s_mul_hi_u32 s28, s24, s4
	s_mul_i32 s29, s24, s4
	s_mul_i32 s31, s27, s25
	s_mul_hi_u32 s4, s27, s4
	s_mul_hi_u32 s30, s27, s25
	s_add_u32 s4, s4, s31
	s_addc_u32 s27, 0, s30
	s_add_u32 s4, s4, s29
	s_mul_hi_u32 s5, s24, s25
	s_addc_u32 s4, s27, s28
	s_addc_u32 s5, s5, 0
	s_mul_i32 s25, s24, s25
	s_add_u32 s4, s4, s25
	s_addc_u32 s5, 0, s5
	v_add_co_u32_e32 v1, vcc, s4, v1
	s_cmp_lg_u64 vcc, 0
	s_addc_u32 s27, s24, s5
	s_ashr_i32 s24, s15, 31
	s_add_u32 s4, s14, s24
	s_mov_b32 s25, s24
	s_addc_u32 s5, s15, s24
	s_xor_b64 s[28:29], s[4:5], s[24:25]
	v_readfirstlane_b32 s30, v1
	s_mul_i32 s5, s28, s27
	s_mul_hi_u32 s31, s28, s30
	s_mul_hi_u32 s4, s28, s27
	s_add_u32 s5, s31, s5
	s_addc_u32 s4, 0, s4
	s_mul_hi_u32 s33, s29, s30
	s_mul_i32 s30, s29, s30
	s_add_u32 s5, s5, s30
	s_mul_hi_u32 s31, s29, s27
	s_addc_u32 s4, s4, s33
	s_addc_u32 s5, s31, 0
	s_mul_i32 s27, s29, s27
	s_add_u32 s27, s4, s27
	s_addc_u32 s30, 0, s5
	s_mul_i32 s4, s22, s30
	s_mul_hi_u32 s5, s22, s27
	s_add_i32 s4, s5, s4
	s_mul_i32 s5, s23, s27
	s_add_i32 s31, s4, s5
	s_mul_i32 s5, s22, s27
	v_mov_b32_e32 v1, s5
	s_sub_i32 s4, s29, s31
	v_sub_co_u32_e32 v1, vcc, s28, v1
	s_cmp_lg_u64 vcc, 0
	s_subb_u32 s28, s4, s23
	v_subrev_co_u32_e64 v2, s[4:5], s22, v1
	s_cmp_lg_u64 s[4:5], 0
	s_subb_u32 s4, s28, 0
	s_cmp_ge_u32 s4, s23
	v_readfirstlane_b32 s28, v2
	s_cselect_b32 s5, -1, 0
	s_cmp_ge_u32 s28, s22
	s_cselect_b32 s28, -1, 0
	s_cmp_eq_u32 s4, s23
	s_cselect_b32 s4, s28, s5
	s_add_u32 s5, s27, 1
	s_addc_u32 s28, s30, 0
	s_add_u32 s33, s27, 2
	s_addc_u32 s34, s30, 0
	s_cmp_lg_u32 s4, 0
	s_cselect_b32 s4, s33, s5
	s_cselect_b32 s5, s34, s28
	s_cmp_lg_u64 vcc, 0
	s_subb_u32 s28, s29, s31
	s_cmp_ge_u32 s28, s23
	v_readfirstlane_b32 s31, v1
	s_cselect_b32 s29, -1, 0
	s_cmp_ge_u32 s31, s22
	s_cselect_b32 s22, -1, 0
	s_cmp_eq_u32 s28, s23
	s_cselect_b32 s22, s22, s29
	s_cmp_lg_u32 s22, 0
	s_cselect_b32 s5, s5, s30
	s_cselect_b32 s4, s4, s27
	s_xor_b64 s[18:19], s[24:25], s[18:19]
	s_xor_b64 s[4:5], s[4:5], s[18:19]
	s_sub_u32 s18, s4, s18
	s_subb_u32 s19, s5, s19
	s_cbranch_execnz .LBB5_5
.LBB5_4:
	v_cvt_f32_u32_e32 v1, s16
	s_sub_i32 s4, 0, s16
	s_mov_b32 s19, 0
	v_rcp_iflag_f32_e32 v1, v1
	s_nop 0
	v_mul_f32_e32 v1, 0x4f7ffffe, v1
	v_cvt_u32_f32_e32 v1, v1
	s_nop 0
	v_readfirstlane_b32 s5, v1
	s_mul_i32 s4, s4, s5
	s_mul_hi_u32 s4, s5, s4
	s_add_i32 s5, s5, s4
	s_mul_hi_u32 s4, s14, s5
	s_mul_i32 s6, s4, s16
	s_sub_i32 s6, s14, s6
	s_add_i32 s5, s4, 1
	s_sub_i32 s7, s6, s16
	s_cmp_ge_u32 s6, s16
	s_cselect_b32 s4, s5, s4
	s_cselect_b32 s6, s7, s6
	s_add_i32 s5, s4, 1
	s_cmp_ge_u32 s6, s16
	s_cselect_b32 s18, s5, s4
.LBB5_5:
	s_abs_i32 s24, s26
	v_cvt_f32_u32_e32 v1, s24
	s_sub_i32 s27, 0, s24
	s_ashr_i32 s25, s26, 31
	s_load_dwordx2 s[22:23], s[0:1], 0x10
	s_load_dwordx4 s[4:7], s[0:1], 0x40
	v_rcp_iflag_f32_e32 v1, v1
	s_nop 0
	v_mul_f32_e32 v1, 0x4f7ffffe, v1
	v_cvt_u32_f32_e32 v1, v1
	v_mul_lo_u32 v2, s27, v1
	v_mul_hi_u32 v2, v1, v2
	v_add_u32_e32 v1, v1, v2
	v_mul_hi_u32 v1, v0, v1
	v_mul_lo_u32 v2, v1, s24
	v_sub_u32_e32 v2, v0, v2
	v_add_u32_e32 v3, 1, v1
	v_cmp_le_u32_e32 vcc, s24, v2
	s_mul_hi_i32 s27, s26, s10
	s_mul_i32 s10, s13, s12
	v_cndmask_b32_e32 v1, v1, v3, vcc
	v_subrev_u32_e32 v3, s24, v2
	v_cndmask_b32_e32 v2, v2, v3, vcc
	v_add_u32_e32 v3, 1, v1
	v_cmp_le_u32_e32 vcc, s24, v2
	s_ashr_i32 s24, s8, 31
	s_mul_i32 s24, s24, s2
	v_cndmask_b32_e32 v1, v1, v3, vcc
	v_xor_b32_e32 v1, s25, v1
	v_subrev_u32_e32 v1, s25, v1
	s_mul_hi_u32 s25, s8, s2
	s_add_i32 s25, s25, s24
	s_mul_i32 s24, s8, s2
	v_mul_lo_u32 v2, v1, s26
	s_lshl_b64 s[28:29], s[24:25], 1
	v_sub_u32_e32 v3, v0, v2
	s_waitcnt lgkmcnt(0)
	s_add_u32 s28, s20, s28
	v_mul_lo_u32 v4, v1, s11
	s_addc_u32 s29, s21, s29
	v_ashrrev_i32_e32 v5, 31, v4
	v_mul_lo_u32 v6, v3, s13
	v_lshl_add_u64 v[0:1], v[4:5], 1, s[28:29]
	v_ashrrev_i32_e32 v7, 31, v6
	s_load_dword s28, s[4:5], 0x0
	s_load_dword s26, s[6:7], 0x0
	v_lshl_add_u64 v[12:13], v[6:7], 1, v[0:1]
	s_ashr_i32 s29, s13, 31
	s_and_b32 s4, s13, 7
	v_and_b32_e32 v0, 15, v12
	v_mov_b32_e32 v1, 0
	s_cmp_lg_u32 s4, 0
	v_mul_lo_u32 v8, s10, v2
	v_mul_lo_u32 v10, s10, v3
	v_cmp_ne_u64_e32 vcc, 0, v[0:1]
	s_cselect_b64 s[4:5], -1, 0
	s_mov_b32 s8, s13
	v_ashrrev_i32_e32 v9, 31, v8
	v_ashrrev_i32_e32 v11, 31, v10
	s_or_b64 s[4:5], s[4:5], vcc
	s_and_saveexec_b64 s[6:7], s[4:5]
	s_xor_b64 s[4:5], exec, s[6:7]
	s_cbranch_execz .LBB5_16
; %bb.6:
	v_sub_u32_e32 v0, 0, v12
	v_bfe_u32 v0, v0, 1, 3
	v_min_i32_e32 v14, s13, v0
	v_cmp_lt_i32_e32 vcc, 0, v14
	s_and_saveexec_b64 s[6:7], vcc
	s_cbranch_execz .LBB5_9
; %bb.7:
	s_add_u32 s10, s3, -1
	s_addc_u32 s11, s27, -1
	s_mul_i32 s11, s18, s11
	s_mul_hi_u32 s30, s18, s10
	s_add_i32 s11, s30, s11
	s_mul_i32 s30, s19, s10
	s_mul_i32 s10, s18, s10
	s_add_i32 s11, s11, s30
	s_mul_i32 s30, s10, s17
	s_mul_hi_u32 s31, s10, s16
	s_add_i32 s30, s31, s30
	s_mul_i32 s11, s11, s16
	s_add_i32 s30, s30, s11
	s_mul_i32 s10, s10, s16
	s_add_u32 s10, s14, s10
	s_addc_u32 s11, s15, s30
	s_mul_i32 s11, s11, s8
	s_mul_i32 s30, s10, s29
	v_mov_b32_e32 v0, s8
	s_add_i32 s30, s30, s11
	v_mad_u64_u32 v[0:1], s[10:11], s10, v0, v[8:9]
	v_add_u32_e32 v1, s30, v1
	v_lshl_add_u64 v[0:1], v[0:1], 0, v[10:11]
	v_lshl_add_u64 v[0:1], s[22:23], 0, v[0:1]
	s_mov_b64 s[10:11], 0
	s_mov_b32 s30, 0x7f800000
	s_mov_b32 s31, 0x43700000
	v_mov_b32_e32 v15, 0xc3700000
	v_mov_b32_e32 v16, v14
	v_mov_b64_e32 v[2:3], v[12:13]
.LBB5_8:                                ; =>This Inner Loop Header: Depth=1
	global_load_ushort v17, v[2:3], off
	v_mov_b32_e32 v18, 0
	v_add_u32_e32 v16, -1, v16
	v_lshl_add_u64 v[2:3], v[2:3], 0, 2
	s_waitcnt vmcnt(0)
	v_cvt_f32_f16_e32 v17, v17
	s_waitcnt lgkmcnt(0)
	v_div_scale_f32 v19, s[34:35], s28, s28, v17
	v_rcp_f32_e32 v21, v19
	v_div_scale_f32 v20, vcc, v17, s28, v17
	v_fma_f32 v22, -v19, v21, 1.0
	v_fmac_f32_e32 v21, v22, v21
	v_mul_f32_e32 v22, v20, v21
	v_fma_f32 v23, -v19, v22, v20
	v_fmac_f32_e32 v22, v23, v21
	v_fma_f32 v19, -v19, v22, v20
	v_div_fmas_f32 v19, v19, v21, v22
	v_div_fixup_f32 v17, v19, s28, v17
	v_cvt_f16_f32_e32 v17, v17
	v_cvt_f32_f16_e32 v17, v17
	v_med3_f32 v19, v17, s31, v15
	v_cmp_nlg_f32_e64 vcc, |v17|, s30
	s_nop 1
	v_cndmask_b32_e32 v17, v19, v17, vcc
	v_cvt_pk_fp8_f32 v18, v17, v17
	v_cmp_eq_u32_e32 vcc, 0, v16
	s_or_b64 s[10:11], vcc, s[10:11]
	global_store_byte v[0:1], v18, off
	v_lshl_add_u64 v[0:1], v[0:1], 0, 1
	s_andn2_b64 exec, exec, s[10:11]
	s_cbranch_execnz .LBB5_8
.LBB5_9:
	s_or_b64 exec, exec, s[6:7]
	v_sub_u32_e32 v18, s13, v14
	v_ashrrev_i32_e32 v0, 31, v18
	v_lshrrev_b32_e32 v0, 29, v0
	v_add_u32_e32 v0, v18, v0
	v_ashrrev_i32_e32 v15, 31, v14
	v_ashrrev_i32_e32 v19, 3, v0
	v_cmp_lt_i32_e32 vcc, 7, v18
	s_and_saveexec_b64 s[6:7], vcc
	s_cbranch_execz .LBB5_12
; %bb.10:
	s_add_u32 s10, s3, -1
	s_addc_u32 s11, s27, -1
	s_mul_i32 s11, s18, s11
	s_mul_hi_u32 s30, s18, s10
	s_add_i32 s11, s30, s11
	s_mul_i32 s30, s19, s10
	s_mul_i32 s10, s18, s10
	s_add_i32 s11, s11, s30
	s_mul_i32 s30, s10, s17
	s_mul_hi_u32 s31, s10, s16
	s_add_i32 s30, s31, s30
	s_mul_i32 s11, s11, s16
	s_add_i32 s30, s30, s11
	s_mul_i32 s10, s10, s16
	s_add_u32 s10, s14, s10
	s_addc_u32 s11, s15, s30
	s_mul_i32 s11, s11, s8
	s_mul_i32 s30, s10, s29
	v_mov_b32_e32 v0, s8
	s_add_i32 s30, s30, s11
	v_mad_u64_u32 v[0:1], s[10:11], s10, v0, v[14:15]
	v_add_u32_e32 v1, s30, v1
	v_lshl_add_u64 v[0:1], v[0:1], 0, v[8:9]
	v_lshl_add_u64 v[0:1], v[0:1], 0, v[10:11]
	;; [unrolled: 1-line block ×4, first 2 shown]
	s_mov_b64 s[10:11], 0
	s_mov_b32 s30, 0x7f800000
	s_mov_b32 s31, 0x43700000
	v_mov_b32_e32 v20, 0xc3700000
	s_mov_b32 s33, 0x4020c0c
	v_mov_b32_e32 v21, 8
	v_mov_b32_e32 v22, v19
.LBB5_11:                               ; =>This Inner Loop Header: Depth=1
	global_load_dwordx4 v[0:3], v[12:13], off
	v_add_u32_e32 v22, -1, v22
	v_lshl_add_u64 v[12:13], v[12:13], 0, 16
	s_waitcnt vmcnt(0)
	v_cvt_f32_f16_e32 v23, v0
	v_cvt_f32_f16_sdwa v0, v0 dst_sel:DWORD dst_unused:UNUSED_PAD src0_sel:WORD_1
	s_waitcnt lgkmcnt(0)
	v_div_scale_f32 v24, s[34:35], s28, s28, v23
	v_rcp_f32_e32 v25, v24
	s_nop 0
	v_fma_f32 v26, -v24, v25, 1.0
	v_fmac_f32_e32 v25, v26, v25
	v_div_scale_f32 v26, vcc, v23, s28, v23
	v_mul_f32_e32 v27, v26, v25
	v_fma_f32 v28, -v24, v27, v26
	v_fmac_f32_e32 v27, v28, v25
	v_fma_f32 v24, -v24, v27, v26
	v_div_fmas_f32 v24, v24, v25, v27
	v_div_fixup_f32 v23, v24, s28, v23
	v_cvt_f16_f32_e32 v23, v23
	v_cvt_f32_f16_e32 v23, v23
	v_cmp_nlg_f32_e64 vcc, |v23|, s30
	v_med3_f32 v24, v23, s31, v20
	s_nop 0
	v_cndmask_b32_e32 v24, v24, v23, vcc
	v_mov_b32_e32 v23, 0
	v_cvt_pk_fp8_f32 v23, v24, v24
	v_div_scale_f32 v24, s[34:35], s28, s28, v0
	v_rcp_f32_e32 v25, v24
	s_nop 0
	v_fma_f32 v26, -v24, v25, 1.0
	v_fmac_f32_e32 v25, v26, v25
	v_div_scale_f32 v26, vcc, v0, s28, v0
	v_mul_f32_e32 v27, v26, v25
	v_fma_f32 v28, -v24, v27, v26
	v_fmac_f32_e32 v27, v28, v25
	v_fma_f32 v24, -v24, v27, v26
	v_div_fmas_f32 v24, v24, v25, v27
	v_div_fixup_f32 v0, v24, s28, v0
	v_cvt_f16_f32_e32 v0, v0
	v_cvt_f32_f16_e32 v0, v0
	v_cmp_nlg_f32_e64 vcc, |v0|, s30
	v_med3_f32 v24, v0, s31, v20
	s_nop 0
	v_cndmask_b32_e32 v0, v24, v0, vcc
	v_mov_b32_e32 v24, 0
	v_cvt_pk_fp8_f32 v24, v0, v0
	v_cvt_f32_f16_e32 v0, v1
	v_div_scale_f32 v25, s[34:35], s28, s28, v0
	v_rcp_f32_e32 v26, v25
	s_nop 0
	v_fma_f32 v27, -v25, v26, 1.0
	v_fmac_f32_e32 v26, v27, v26
	v_div_scale_f32 v27, vcc, v0, s28, v0
	v_mul_f32_e32 v28, v27, v26
	v_fma_f32 v29, -v25, v28, v27
	v_fmac_f32_e32 v28, v29, v26
	v_fma_f32 v25, -v25, v28, v27
	v_div_fmas_f32 v25, v25, v26, v28
	v_div_fixup_f32 v0, v25, s28, v0
	v_cvt_f16_f32_e32 v0, v0
	v_cvt_f32_f16_e32 v0, v0
	v_cmp_nlg_f32_e64 vcc, |v0|, s30
	v_med3_f32 v25, v0, s31, v20
	s_nop 0
	v_cndmask_b32_e32 v0, v25, v0, vcc
	v_mov_b32_e32 v25, 0
	v_cvt_pk_fp8_f32 v25, v0, v0
	v_cvt_f32_f16_sdwa v0, v1 dst_sel:DWORD dst_unused:UNUSED_PAD src0_sel:WORD_1
	v_div_scale_f32 v1, s[34:35], s28, s28, v0
	v_rcp_f32_e32 v26, v1
	s_nop 0
	v_fma_f32 v27, -v1, v26, 1.0
	v_fmac_f32_e32 v26, v27, v26
	v_div_scale_f32 v27, vcc, v0, s28, v0
	v_mul_f32_e32 v28, v27, v26
	v_fma_f32 v29, -v1, v28, v27
	v_fmac_f32_e32 v28, v29, v26
	v_fma_f32 v1, -v1, v28, v27
	v_div_fmas_f32 v1, v1, v26, v28
	v_div_fixup_f32 v0, v1, s28, v0
	v_cvt_f16_f32_e32 v0, v0
	v_mov_b32_e32 v26, 0
	v_cvt_f32_f16_e32 v0, v0
	v_cmp_nlg_f32_e64 vcc, |v0|, s30
	v_med3_f32 v1, v0, s31, v20
	s_nop 0
	v_cndmask_b32_e32 v0, v1, v0, vcc
	v_cvt_pk_fp8_f32 v26, v0, v0
	v_cvt_f32_f16_e32 v0, v2
	v_div_scale_f32 v1, s[34:35], s28, s28, v0
	v_rcp_f32_e32 v27, v1
	s_nop 0
	v_fma_f32 v28, -v1, v27, 1.0
	v_fmac_f32_e32 v27, v28, v27
	v_div_scale_f32 v28, vcc, v0, s28, v0
	v_mul_f32_e32 v29, v28, v27
	v_fma_f32 v30, -v1, v29, v28
	v_fmac_f32_e32 v29, v30, v27
	v_fma_f32 v1, -v1, v29, v28
	v_div_fmas_f32 v1, v1, v27, v29
	v_div_fixup_f32 v0, v1, s28, v0
	v_cvt_f16_f32_e32 v0, v0
	v_cvt_f32_f16_e32 v0, v0
	v_cmp_nlg_f32_e64 vcc, |v0|, s30
	v_med3_f32 v1, v0, s31, v20
	s_nop 0
	v_cndmask_b32_e32 v0, v1, v0, vcc
	v_mov_b32_e32 v1, 0
	v_cvt_pk_fp8_f32 v1, v0, v0
	v_cvt_f32_f16_sdwa v0, v2 dst_sel:DWORD dst_unused:UNUSED_PAD src0_sel:WORD_1
	v_and_b32_e32 v1, 0xff, v1
	v_div_scale_f32 v2, s[34:35], s28, s28, v0
	v_rcp_f32_e32 v27, v2
	s_nop 0
	v_fma_f32 v28, -v2, v27, 1.0
	v_fmac_f32_e32 v27, v28, v27
	v_div_scale_f32 v28, vcc, v0, s28, v0
	v_mul_f32_e32 v29, v28, v27
	v_fma_f32 v30, -v2, v29, v28
	v_fmac_f32_e32 v29, v30, v27
	v_fma_f32 v2, -v2, v29, v28
	v_div_fmas_f32 v2, v2, v27, v29
	v_div_fixup_f32 v0, v2, s28, v0
	v_cvt_f16_f32_e32 v0, v0
	v_cvt_f32_f16_e32 v0, v0
	v_cmp_nlg_f32_e64 vcc, |v0|, s30
	v_med3_f32 v2, v0, s31, v20
	s_nop 0
	v_cndmask_b32_e32 v0, v2, v0, vcc
	v_mov_b32_e32 v2, 0
	v_cvt_pk_fp8_f32 v2, v0, v0
	v_cvt_f32_f16_e32 v0, v3
	v_lshlrev_b32_sdwa v2, v21, v2 dst_sel:DWORD dst_unused:UNUSED_PAD src0_sel:DWORD src1_sel:BYTE_0
	v_div_scale_f32 v27, s[34:35], s28, s28, v0
	v_rcp_f32_e32 v28, v27
	s_nop 0
	v_fma_f32 v29, -v27, v28, 1.0
	v_fmac_f32_e32 v28, v29, v28
	v_div_scale_f32 v29, vcc, v0, s28, v0
	v_mul_f32_e32 v30, v29, v28
	v_fma_f32 v31, -v27, v30, v29
	v_fmac_f32_e32 v30, v31, v28
	v_fma_f32 v27, -v27, v30, v29
	v_div_fmas_f32 v27, v27, v28, v30
	v_div_fixup_f32 v0, v27, s28, v0
	v_cvt_f16_f32_e32 v0, v0
	v_cvt_f32_f16_e32 v0, v0
	v_cmp_nlg_f32_e64 vcc, |v0|, s30
	v_med3_f32 v27, v0, s31, v20
	s_nop 0
	v_cndmask_b32_e32 v0, v27, v0, vcc
	v_mov_b32_e32 v27, 0
	v_cvt_pk_fp8_f32 v27, v0, v0
	v_cvt_f32_f16_sdwa v0, v3 dst_sel:DWORD dst_unused:UNUSED_PAD src0_sel:WORD_1
	v_div_scale_f32 v3, s[34:35], s28, s28, v0
	v_rcp_f32_e32 v28, v3
	s_nop 0
	v_fma_f32 v29, -v3, v28, 1.0
	v_fmac_f32_e32 v28, v29, v28
	v_div_scale_f32 v29, vcc, v0, s28, v0
	v_mul_f32_e32 v30, v29, v28
	v_fma_f32 v31, -v3, v30, v29
	v_fmac_f32_e32 v30, v31, v28
	v_fma_f32 v3, -v3, v30, v29
	v_div_fmas_f32 v3, v3, v28, v30
	v_div_fixup_f32 v0, v3, s28, v0
	v_cvt_f16_f32_e32 v0, v0
	v_cvt_f32_f16_e32 v0, v0
	v_cmp_nlg_f32_e64 vcc, |v0|, s30
	v_med3_f32 v3, v0, s31, v20
	s_nop 0
	v_cndmask_b32_e32 v0, v3, v0, vcc
	v_mov_b32_e32 v3, 0
	v_cvt_pk_fp8_f32 v3, v0, v0
	v_cmp_eq_u32_e32 vcc, 0, v22
	s_or_b64 s[10:11], vcc, s[10:11]
	v_lshlrev_b32_e32 v0, 24, v3
	v_and_b32_e32 v3, 0xff, v27
	v_lshlrev_b32_e32 v3, 16, v3
	v_or_b32_e32 v0, v0, v3
	v_or3_b32 v1, v0, v2, v1
	v_lshlrev_b32_e32 v0, 16, v25
	v_lshlrev_b32_e32 v2, 8, v24
	v_perm_b32 v0, v26, v0, s33
	v_and_b32_e32 v3, 0xff, v23
	v_and_b32_e32 v2, 0xff00, v2
	v_or3_b32 v0, v0, v2, v3
	global_store_dwordx2 v[16:17], v[0:1], off
	v_lshl_add_u64 v[16:17], v[16:17], 0, 8
	s_andn2_b64 exec, exec, s[10:11]
	s_cbranch_execnz .LBB5_11
.LBB5_12:
	s_or_b64 exec, exec, s[6:7]
	v_lshlrev_b32_e32 v0, 3, v19
	v_cmp_lt_i32_e32 vcc, v0, v18
	s_and_saveexec_b64 s[6:7], vcc
	s_cbranch_execz .LBB5_15
; %bb.13:
	v_lshlrev_b64 v[2:3], 1, v[14:15]
	v_lshl_add_u64 v[2:3], s[24:25], 1, v[2:3]
	v_lshl_add_u64 v[2:3], v[6:7], 1, v[2:3]
	;; [unrolled: 1-line block ×3, first 2 shown]
	v_ashrrev_i32_e32 v1, 31, v0
	s_add_u32 s10, s3, -1
	v_lshl_add_u64 v[2:3], v[0:1], 1, v[2:3]
	s_addc_u32 s11, s27, -1
	v_lshl_add_u64 v[2:3], s[20:21], 0, v[2:3]
	s_mul_i32 s11, s18, s11
	s_mul_hi_u32 s20, s18, s10
	s_add_i32 s11, s20, s11
	s_mul_i32 s20, s19, s10
	s_mul_i32 s10, s18, s10
	s_add_i32 s11, s11, s20
	s_mul_i32 s20, s10, s17
	s_mul_hi_u32 s21, s10, s16
	s_add_i32 s20, s21, s20
	s_mul_i32 s11, s11, s16
	s_add_i32 s20, s20, s11
	s_mul_i32 s10, s10, s16
	s_add_u32 s10, s14, s10
	s_addc_u32 s11, s15, s20
	s_mul_i32 s11, s11, s8
	s_mul_i32 s20, s10, s29
	v_mov_b32_e32 v12, s8
	s_add_i32 s20, s20, s11
	v_mad_u64_u32 v[12:13], s[10:11], s10, v12, v[14:15]
	v_add_u32_e32 v13, s20, v13
	v_lshl_add_u64 v[12:13], v[12:13], 0, v[8:9]
	v_lshl_add_u64 v[10:11], v[12:13], 0, v[10:11]
	;; [unrolled: 1-line block ×4, first 2 shown]
	s_mov_b64 s[10:11], 0
	s_mov_b32 s20, 0x7f800000
	s_mov_b32 s21, 0x43700000
	v_mov_b32_e32 v1, 0xc3700000
.LBB5_14:                               ; =>This Inner Loop Header: Depth=1
	global_load_ushort v12, v[2:3], off
	v_mov_b32_e32 v13, 0
	v_add_u32_e32 v0, 1, v0
	v_lshl_add_u64 v[2:3], v[2:3], 0, 2
	s_waitcnt vmcnt(0)
	v_cvt_f32_f16_e32 v12, v12
	s_waitcnt lgkmcnt(0)
	v_div_scale_f32 v14, s[24:25], s28, s28, v12
	v_rcp_f32_e32 v16, v14
	v_div_scale_f32 v15, vcc, v12, s28, v12
	v_fma_f32 v17, -v14, v16, 1.0
	v_fmac_f32_e32 v16, v17, v16
	v_mul_f32_e32 v17, v15, v16
	v_fma_f32 v19, -v14, v17, v15
	v_fmac_f32_e32 v17, v19, v16
	v_fma_f32 v14, -v14, v17, v15
	v_div_fmas_f32 v14, v14, v16, v17
	v_div_fixup_f32 v12, v14, s28, v12
	v_cvt_f16_f32_e32 v12, v12
	v_cvt_f32_f16_e32 v12, v12
	v_med3_f32 v14, v12, s21, v1
	v_cmp_nlg_f32_e64 vcc, |v12|, s20
	s_nop 1
	v_cndmask_b32_e32 v12, v14, v12, vcc
	v_cvt_pk_fp8_f32 v13, v12, v12
	v_cmp_ge_i32_e32 vcc, v0, v18
	s_or_b64 s[10:11], vcc, s[10:11]
	global_store_byte v[10:11], v13, off
	v_lshl_add_u64 v[10:11], v[10:11], 0, 1
	s_andn2_b64 exec, exec, s[10:11]
	s_cbranch_execnz .LBB5_14
.LBB5_15:
	s_or_b64 exec, exec, s[6:7]
                                        ; implicit-def: $vgpr12_vgpr13
                                        ; implicit-def: $vgpr10_vgpr11
.LBB5_16:
	s_andn2_saveexec_b64 s[4:5], s[4:5]
	s_cbranch_execz .LBB5_20
; %bb.17:
	s_ashr_i32 s6, s13, 3
	s_cmp_lt_i32 s6, 1
	s_cbranch_scc1 .LBB5_20
; %bb.18:
	s_add_u32 s7, s3, -1
	s_addc_u32 s10, s27, -1
	s_mul_i32 s10, s18, s10
	s_mul_hi_u32 s11, s18, s7
	s_add_i32 s10, s11, s10
	s_mul_i32 s11, s19, s7
	s_mul_i32 s7, s18, s7
	s_add_i32 s10, s10, s11
	s_mul_i32 s11, s7, s17
	s_mul_hi_u32 s20, s7, s16
	s_add_i32 s11, s20, s11
	s_mul_i32 s10, s10, s16
	s_add_i32 s11, s11, s10
	s_mul_i32 s7, s7, s16
	s_add_u32 s7, s14, s7
	s_addc_u32 s10, s15, s11
	s_mul_i32 s10, s10, s8
	s_mul_i32 s11, s7, s29
	v_mov_b32_e32 v0, s8
	s_add_i32 s20, s11, s10
	v_mad_u64_u32 v[0:1], s[10:11], s7, v0, v[8:9]
	v_add_u32_e32 v1, s20, v1
	v_lshl_add_u64 v[0:1], v[0:1], 0, v[10:11]
	v_lshl_add_u64 v[10:11], s[22:23], 0, v[0:1]
	s_mov_b32 s7, 0x7f800000
	s_mov_b32 s10, 0x43700000
	v_mov_b32_e32 v14, 0xc3700000
	s_mov_b32 s11, 0x4020c0c
	v_mov_b32_e32 v15, 8
.LBB5_19:                               ; =>This Inner Loop Header: Depth=1
	global_load_dwordx4 v[0:3], v[12:13], off
	s_add_i32 s6, s6, -1
	v_lshl_add_u64 v[12:13], v[12:13], 0, 16
	s_cmp_eq_u32 s6, 0
	s_waitcnt vmcnt(0)
	v_cvt_f32_f16_e32 v16, v0
	v_cvt_f32_f16_sdwa v0, v0 dst_sel:DWORD dst_unused:UNUSED_PAD src0_sel:WORD_1
	s_waitcnt lgkmcnt(0)
	v_div_scale_f32 v17, s[20:21], s28, s28, v16
	v_rcp_f32_e32 v18, v17
	s_nop 0
	v_fma_f32 v19, -v17, v18, 1.0
	v_fmac_f32_e32 v18, v19, v18
	v_div_scale_f32 v19, vcc, v16, s28, v16
	v_mul_f32_e32 v20, v19, v18
	v_fma_f32 v21, -v17, v20, v19
	v_fmac_f32_e32 v20, v21, v18
	v_fma_f32 v17, -v17, v20, v19
	v_div_fmas_f32 v17, v17, v18, v20
	v_div_fixup_f32 v16, v17, s28, v16
	v_cvt_f16_f32_e32 v16, v16
	v_cvt_f32_f16_e32 v16, v16
	v_cmp_nlg_f32_e64 vcc, |v16|, s7
	v_med3_f32 v17, v16, s10, v14
	s_nop 0
	v_cndmask_b32_e32 v17, v17, v16, vcc
	v_mov_b32_e32 v16, 0
	v_cvt_pk_fp8_f32 v16, v17, v17
	v_div_scale_f32 v17, s[20:21], s28, s28, v0
	v_rcp_f32_e32 v18, v17
	s_nop 0
	v_fma_f32 v19, -v17, v18, 1.0
	v_fmac_f32_e32 v18, v19, v18
	v_div_scale_f32 v19, vcc, v0, s28, v0
	v_mul_f32_e32 v20, v19, v18
	v_fma_f32 v21, -v17, v20, v19
	v_fmac_f32_e32 v20, v21, v18
	v_fma_f32 v17, -v17, v20, v19
	v_div_fmas_f32 v17, v17, v18, v20
	v_div_fixup_f32 v0, v17, s28, v0
	v_cvt_f16_f32_e32 v0, v0
	v_cvt_f32_f16_e32 v0, v0
	v_cmp_nlg_f32_e64 vcc, |v0|, s7
	v_med3_f32 v17, v0, s10, v14
	s_nop 0
	v_cndmask_b32_e32 v0, v17, v0, vcc
	v_mov_b32_e32 v17, 0
	v_cvt_pk_fp8_f32 v17, v0, v0
	v_cvt_f32_f16_e32 v0, v1
	v_div_scale_f32 v18, s[20:21], s28, s28, v0
	v_rcp_f32_e32 v19, v18
	s_nop 0
	v_fma_f32 v20, -v18, v19, 1.0
	v_fmac_f32_e32 v19, v20, v19
	v_div_scale_f32 v20, vcc, v0, s28, v0
	v_mul_f32_e32 v21, v20, v19
	v_fma_f32 v22, -v18, v21, v20
	v_fmac_f32_e32 v21, v22, v19
	v_fma_f32 v18, -v18, v21, v20
	v_div_fmas_f32 v18, v18, v19, v21
	v_div_fixup_f32 v0, v18, s28, v0
	v_cvt_f16_f32_e32 v0, v0
	v_cvt_f32_f16_e32 v0, v0
	v_cmp_nlg_f32_e64 vcc, |v0|, s7
	v_med3_f32 v18, v0, s10, v14
	s_nop 0
	v_cndmask_b32_e32 v0, v18, v0, vcc
	v_mov_b32_e32 v18, 0
	v_cvt_pk_fp8_f32 v18, v0, v0
	v_cvt_f32_f16_sdwa v0, v1 dst_sel:DWORD dst_unused:UNUSED_PAD src0_sel:WORD_1
	v_div_scale_f32 v1, s[20:21], s28, s28, v0
	v_rcp_f32_e32 v19, v1
	s_nop 0
	v_fma_f32 v20, -v1, v19, 1.0
	v_fmac_f32_e32 v19, v20, v19
	v_div_scale_f32 v20, vcc, v0, s28, v0
	v_mul_f32_e32 v21, v20, v19
	v_fma_f32 v22, -v1, v21, v20
	v_fmac_f32_e32 v21, v22, v19
	v_fma_f32 v1, -v1, v21, v20
	v_div_fmas_f32 v1, v1, v19, v21
	v_div_fixup_f32 v0, v1, s28, v0
	v_cvt_f16_f32_e32 v0, v0
	v_mov_b32_e32 v19, 0
	v_cvt_f32_f16_e32 v0, v0
	v_cmp_nlg_f32_e64 vcc, |v0|, s7
	v_med3_f32 v1, v0, s10, v14
	s_nop 0
	v_cndmask_b32_e32 v0, v1, v0, vcc
	v_cvt_pk_fp8_f32 v19, v0, v0
	v_cvt_f32_f16_e32 v0, v2
	v_div_scale_f32 v1, s[20:21], s28, s28, v0
	v_rcp_f32_e32 v20, v1
	s_nop 0
	v_fma_f32 v21, -v1, v20, 1.0
	v_fmac_f32_e32 v20, v21, v20
	v_div_scale_f32 v21, vcc, v0, s28, v0
	v_mul_f32_e32 v22, v21, v20
	v_fma_f32 v23, -v1, v22, v21
	v_fmac_f32_e32 v22, v23, v20
	v_fma_f32 v1, -v1, v22, v21
	v_div_fmas_f32 v1, v1, v20, v22
	v_div_fixup_f32 v0, v1, s28, v0
	v_cvt_f16_f32_e32 v0, v0
	v_cvt_f32_f16_e32 v0, v0
	v_cmp_nlg_f32_e64 vcc, |v0|, s7
	v_med3_f32 v1, v0, s10, v14
	s_nop 0
	v_cndmask_b32_e32 v0, v1, v0, vcc
	v_mov_b32_e32 v1, 0
	v_cvt_pk_fp8_f32 v1, v0, v0
	v_cvt_f32_f16_sdwa v0, v2 dst_sel:DWORD dst_unused:UNUSED_PAD src0_sel:WORD_1
	v_and_b32_e32 v1, 0xff, v1
	v_div_scale_f32 v2, s[20:21], s28, s28, v0
	v_rcp_f32_e32 v20, v2
	s_nop 0
	v_fma_f32 v21, -v2, v20, 1.0
	v_fmac_f32_e32 v20, v21, v20
	v_div_scale_f32 v21, vcc, v0, s28, v0
	v_mul_f32_e32 v22, v21, v20
	v_fma_f32 v23, -v2, v22, v21
	v_fmac_f32_e32 v22, v23, v20
	v_fma_f32 v2, -v2, v22, v21
	v_div_fmas_f32 v2, v2, v20, v22
	v_div_fixup_f32 v0, v2, s28, v0
	v_cvt_f16_f32_e32 v0, v0
	v_cvt_f32_f16_e32 v0, v0
	v_cmp_nlg_f32_e64 vcc, |v0|, s7
	v_med3_f32 v2, v0, s10, v14
	s_nop 0
	v_cndmask_b32_e32 v0, v2, v0, vcc
	v_mov_b32_e32 v2, 0
	v_cvt_pk_fp8_f32 v2, v0, v0
	v_cvt_f32_f16_e32 v0, v3
	v_lshlrev_b32_sdwa v2, v15, v2 dst_sel:DWORD dst_unused:UNUSED_PAD src0_sel:DWORD src1_sel:BYTE_0
	v_div_scale_f32 v20, s[20:21], s28, s28, v0
	v_rcp_f32_e32 v21, v20
	s_nop 0
	v_fma_f32 v22, -v20, v21, 1.0
	v_fmac_f32_e32 v21, v22, v21
	v_div_scale_f32 v22, vcc, v0, s28, v0
	v_mul_f32_e32 v23, v22, v21
	v_fma_f32 v24, -v20, v23, v22
	v_fmac_f32_e32 v23, v24, v21
	v_fma_f32 v20, -v20, v23, v22
	v_div_fmas_f32 v20, v20, v21, v23
	v_div_fixup_f32 v0, v20, s28, v0
	v_cvt_f16_f32_e32 v0, v0
	v_cvt_f32_f16_e32 v0, v0
	v_cmp_nlg_f32_e64 vcc, |v0|, s7
	v_med3_f32 v20, v0, s10, v14
	s_nop 0
	v_cndmask_b32_e32 v0, v20, v0, vcc
	v_mov_b32_e32 v20, 0
	v_cvt_pk_fp8_f32 v20, v0, v0
	v_cvt_f32_f16_sdwa v0, v3 dst_sel:DWORD dst_unused:UNUSED_PAD src0_sel:WORD_1
	v_div_scale_f32 v3, s[20:21], s28, s28, v0
	v_rcp_f32_e32 v21, v3
	s_nop 0
	v_fma_f32 v22, -v3, v21, 1.0
	v_fmac_f32_e32 v21, v22, v21
	v_div_scale_f32 v22, vcc, v0, s28, v0
	v_mul_f32_e32 v23, v22, v21
	v_fma_f32 v24, -v3, v23, v22
	v_fmac_f32_e32 v23, v24, v21
	v_fma_f32 v3, -v3, v23, v22
	v_div_fmas_f32 v3, v3, v21, v23
	v_div_fixup_f32 v0, v3, s28, v0
	v_cvt_f16_f32_e32 v0, v0
	v_cvt_f32_f16_e32 v0, v0
	v_cmp_nlg_f32_e64 vcc, |v0|, s7
	v_med3_f32 v3, v0, s10, v14
	s_nop 0
	v_cndmask_b32_e32 v0, v3, v0, vcc
	v_mov_b32_e32 v3, 0
	v_cvt_pk_fp8_f32 v3, v0, v0
	v_lshlrev_b32_e32 v0, 24, v3
	v_and_b32_e32 v3, 0xff, v20
	v_lshlrev_b32_e32 v3, 16, v3
	v_or_b32_e32 v0, v0, v3
	v_or3_b32 v1, v0, v2, v1
	v_lshlrev_b32_e32 v0, 16, v18
	v_lshlrev_b32_e32 v2, 8, v17
	v_perm_b32 v0, v19, v0, s11
	v_and_b32_e32 v3, 0xff, v16
	v_and_b32_e32 v2, 0xff00, v2
	v_or3_b32 v0, v0, v2, v3
	global_store_dwordx2 v[10:11], v[0:1], off
	v_lshl_add_u64 v[10:11], v[10:11], 0, 8
	s_cbranch_scc0 .LBB5_19
.LBB5_20:
	s_or_b64 exec, exec, s[4:5]
	s_cmp_lt_i32 s13, 1
	s_cbranch_scc1 .LBB5_27
; %bb.21:
	s_load_dwordx2 s[6:7], s[0:1], 0x8
	s_load_dwordx2 s[4:5], s[0:1], 0x18
	s_mul_i32 s0, s18, s17
	s_mul_hi_u32 s1, s18, s16
	s_add_i32 s0, s1, s0
	s_mul_i32 s1, s19, s16
	s_add_i32 s1, s0, s1
	s_mul_i32 s0, s18, s16
	s_sub_u32 s0, s14, s0
	s_mul_i32 s10, s3, s19
	s_mul_hi_u32 s11, s3, s18
	s_subb_u32 s1, s15, s1
	s_add_i32 s10, s11, s10
	s_mul_i32 s27, s27, s18
	s_add_i32 s10, s10, s27
	s_mul_i32 s3, s3, s18
	s_mul_hi_i32 s11, s8, s16
	s_mul_i32 s8, s8, s16
	s_mul_hi_u32 s14, s8, s3
	s_mul_i32 s10, s8, s10
	s_add_i32 s10, s14, s10
	s_mul_i32 s11, s11, s3
	s_add_i32 s10, s10, s11
	s_mul_i32 s8, s8, s3
	s_waitcnt lgkmcnt(0)
	s_add_u32 s4, s4, s8
	v_mul_lo_u32 v0, v6, s12
	s_addc_u32 s5, s5, s10
	v_ashrrev_i32_e32 v1, 31, v0
	v_lshl_add_u64 v[2:3], s[4:5], 0, v[8:9]
	v_lshl_add_u64 v[0:1], v[2:3], 0, v[0:1]
	s_ashr_i32 s15, s9, 31
	v_lshl_add_u64 v[0:1], v[0:1], 0, s[0:1]
	s_mov_b32 s14, 0
	s_cmp_lt_u32 s13, 4
	s_mul_i32 s15, s15, s2
	s_mul_hi_u32 s16, s9, s2
	s_mul_i32 s8, s9, s2
	v_lshlrev_b64 v[2:3], 1, v[6:7]
	s_cbranch_scc1 .LBB5_24
; %bb.22:
	s_add_i32 s9, s16, s15
	v_lshl_add_u64 v[6:7], s[8:9], 1, v[2:3]
	v_lshl_add_u64 v[6:7], v[4:5], 1, v[6:7]
	;; [unrolled: 1-line block ×3, first 2 shown]
	s_and_b32 s14, s13, 0x7ffffffc
	s_lshl_b32 s17, s12, 2
	s_lshl_b32 s18, s12, 1
	s_mul_i32 s19, s12, 3
	v_lshl_add_u64 v[6:7], v[6:7], 0, 4
	s_mov_b32 s10, 0
	s_mov_b32 s9, 0x7f800000
	;; [unrolled: 1-line block ×3, first 2 shown]
	v_mov_b32_e32 v8, 0xc3700000
	s_mov_b32 s21, 0
.LBB5_23:                               ; =>This Inner Loop Header: Depth=1
	global_load_dwordx2 v[10:11], v[6:7], off offset:-4
	s_add_i32 s0, s12, s10
	s_ashr_i32 s1, s0, 31
	s_add_i32 s2, s18, s10
	v_lshl_add_u64 v[14:15], v[0:1], 0, s[0:1]
	s_add_i32 s4, s19, s10
	s_ashr_i32 s3, s2, 31
	s_ashr_i32 s5, s4, 31
	v_lshl_add_u64 v[16:17], v[0:1], 0, s[2:3]
	v_lshl_add_u64 v[18:19], v[0:1], 0, s[4:5]
	v_mov_b32_e32 v9, 0
	v_mov_b32_e32 v20, 0
	s_ashr_i32 s11, s10, 31
	v_mov_b32_e32 v21, 0
	v_mov_b32_e32 v22, 0
	s_add_i32 s21, s21, 4
	v_lshl_add_u64 v[12:13], v[0:1], 0, s[10:11]
	s_add_i32 s10, s10, s17
	v_lshl_add_u64 v[6:7], v[6:7], 0, 8
	s_cmp_lg_u32 s14, s21
	s_waitcnt vmcnt(0)
	v_cvt_f32_f16_e32 v23, v10
	v_cvt_f32_f16_sdwa v10, v10 dst_sel:DWORD dst_unused:UNUSED_PAD src0_sel:WORD_1
	v_cvt_f32_f16_e32 v24, v11
	v_cvt_f32_f16_sdwa v11, v11 dst_sel:DWORD dst_unused:UNUSED_PAD src0_sel:WORD_1
	v_div_scale_f32 v25, s[0:1], s26, s26, v23
	v_div_scale_f32 v27, s[0:1], s26, s26, v10
	v_rcp_f32_e32 v33, v25
	v_div_scale_f32 v29, s[2:3], s26, s26, v24
	v_rcp_f32_e32 v34, v27
	;; [unrolled: 2-line block ×3, first 2 shown]
	v_rcp_f32_e32 v36, v31
	v_fma_f32 v37, -v25, v33, 1.0
	v_div_scale_f32 v26, vcc, v23, s26, v23
	v_fma_f32 v38, -v27, v34, 1.0
	v_fmac_f32_e32 v33, v37, v33
	v_div_scale_f32 v28, s[0:1], v10, s26, v10
	v_fma_f32 v39, -v29, v35, 1.0
	v_fmac_f32_e32 v34, v38, v34
	v_mul_f32_e32 v37, v26, v33
	v_div_scale_f32 v30, s[2:3], v24, s26, v24
	v_fma_f32 v40, -v31, v36, 1.0
	v_fmac_f32_e32 v35, v39, v35
	v_mul_f32_e32 v38, v28, v34
	v_fma_f32 v41, -v25, v37, v26
	v_div_scale_f32 v32, s[4:5], v11, s26, v11
	v_fmac_f32_e32 v36, v40, v36
	v_mul_f32_e32 v39, v30, v35
	v_fma_f32 v42, -v27, v38, v28
	v_fmac_f32_e32 v37, v41, v33
	v_mul_f32_e32 v40, v32, v36
	v_fma_f32 v43, -v29, v39, v30
	v_fmac_f32_e32 v38, v42, v34
	v_fma_f32 v25, -v25, v37, v26
	v_fma_f32 v44, -v31, v40, v32
	v_fmac_f32_e32 v39, v43, v35
	v_fma_f32 v26, -v27, v38, v28
	v_div_fmas_f32 v25, v25, v33, v37
	s_mov_b64 vcc, s[0:1]
	v_fmac_f32_e32 v40, v44, v36
	v_fma_f32 v27, -v29, v39, v30
	v_div_fixup_f32 v23, v25, s26, v23
	v_div_fmas_f32 v25, v26, v34, v38
	s_mov_b64 vcc, s[2:3]
	v_fma_f32 v28, -v31, v40, v32
	v_cvt_f16_f32_e32 v23, v23
	v_div_fixup_f32 v10, v25, s26, v10
	v_div_fmas_f32 v25, v27, v35, v39
	s_mov_b64 vcc, s[4:5]
	v_cvt_f16_f32_e32 v10, v10
	v_div_fixup_f32 v24, v25, s26, v24
	v_div_fmas_f32 v25, v28, v36, v40
	v_cvt_f16_f32_e32 v24, v24
	v_div_fixup_f32 v11, v25, s26, v11
	v_cvt_f16_f32_e32 v11, v11
	v_cvt_f32_f16_e32 v23, v23
	v_cvt_f32_f16_e32 v10, v10
	;; [unrolled: 1-line block ×4, first 2 shown]
	v_med3_f32 v25, v23, s20, v8
	v_cmp_nlg_f32_e64 vcc, |v23|, s9
	s_nop 1
	v_cndmask_b32_e32 v23, v25, v23, vcc
	v_med3_f32 v25, v10, s20, v8
	v_cmp_nlg_f32_e64 vcc, |v10|, s9
	v_cvt_pk_fp8_f32 v9, v23, v23
	v_med3_f32 v23, v24, s20, v8
	v_cndmask_b32_e32 v10, v25, v10, vcc
	v_cmp_nlg_f32_e64 vcc, |v24|, s9
	v_cvt_pk_fp8_f32 v20, v10, v10
	s_nop 0
	v_cndmask_b32_e32 v10, v23, v24, vcc
	v_med3_f32 v23, v11, s20, v8
	v_cmp_nlg_f32_e64 vcc, |v11|, s9
	v_cvt_pk_fp8_f32 v21, v10, v10
	s_nop 0
	v_cndmask_b32_e32 v10, v23, v11, vcc
	v_cvt_pk_fp8_f32 v22, v10, v10
	global_store_byte v[12:13], v9, off
	global_store_byte v[14:15], v20, off
	;; [unrolled: 1-line block ×4, first 2 shown]
	s_cbranch_scc1 .LBB5_23
.LBB5_24:
	s_and_b32 s2, s13, 3
	s_cmp_eq_u32 s2, 0
	s_cbranch_scc1 .LBB5_27
; %bb.25:
	s_add_i32 s9, s16, s15
	s_lshl_b32 s0, s14, 1
	v_lshl_add_u64 v[2:3], s[8:9], 1, v[2:3]
	s_add_u32 s0, s6, s0
	v_lshl_add_u64 v[2:3], v[4:5], 1, v[2:3]
	s_addc_u32 s1, s7, 0
	v_lshl_add_u64 v[2:3], s[0:1], 0, v[2:3]
	s_mul_i32 s0, s14, s12
	s_mov_b32 s3, 0x7f800000
	s_mov_b32 s4, 0x43700000
	v_mov_b32_e32 v4, 0xc3700000
.LBB5_26:                               ; =>This Inner Loop Header: Depth=1
	global_load_ushort v5, v[2:3], off
	s_ashr_i32 s1, s0, 31
	s_add_i32 s2, s2, -1
	v_lshl_add_u64 v[2:3], v[2:3], 0, 2
	s_waitcnt vmcnt(0)
	v_cvt_f32_f16_e32 v5, v5
	v_div_scale_f32 v6, s[6:7], s26, s26, v5
	v_rcp_f32_e32 v7, v6
	v_div_scale_f32 v8, vcc, v5, s26, v5
	v_fma_f32 v9, -v6, v7, 1.0
	v_fmac_f32_e32 v7, v9, v7
	v_mul_f32_e32 v9, v8, v7
	v_fma_f32 v10, -v6, v9, v8
	v_fmac_f32_e32 v9, v10, v7
	v_fma_f32 v6, -v6, v9, v8
	v_div_fmas_f32 v6, v6, v7, v9
	v_div_fixup_f32 v5, v6, s26, v5
	v_cvt_f16_f32_e32 v5, v5
	v_mov_b32_e32 v8, 0
	v_cvt_f32_f16_e32 v5, v5
	v_med3_f32 v6, v5, s4, v4
	v_cmp_nlg_f32_e64 vcc, |v5|, s3
	s_nop 1
	v_cndmask_b32_e32 v5, v6, v5, vcc
	v_cvt_pk_fp8_f32 v8, v5, v5
	v_lshl_add_u64 v[6:7], v[0:1], 0, s[0:1]
	s_add_i32 s0, s0, s12
	s_cmp_lg_u32 s2, 0
	global_store_byte v[6:7], v8, off
	s_cbranch_scc1 .LBB5_26
.LBB5_27:
	s_endpgm
.LBB5_28:
                                        ; implicit-def: $sgpr18_sgpr19
	s_branch .LBB5_4
	.section	.rodata,"a",@progbits
	.p2align	6, 0x0
	.amdhsa_kernel _ZN4vllm24reshape_and_cache_kernelIthLNS_18Fp8KVCacheDataTypeE1EEEvPKT_S4_PT0_S6_PKliiiiiiPKfSA_
		.amdhsa_group_segment_fixed_size 0
		.amdhsa_private_segment_fixed_size 0
		.amdhsa_kernarg_size 80
		.amdhsa_user_sgpr_count 2
		.amdhsa_user_sgpr_dispatch_ptr 0
		.amdhsa_user_sgpr_queue_ptr 0
		.amdhsa_user_sgpr_kernarg_segment_ptr 1
		.amdhsa_user_sgpr_dispatch_id 0
		.amdhsa_user_sgpr_kernarg_preload_length 0
		.amdhsa_user_sgpr_kernarg_preload_offset 0
		.amdhsa_user_sgpr_private_segment_size 0
		.amdhsa_uses_dynamic_stack 0
		.amdhsa_enable_private_segment 0
		.amdhsa_system_sgpr_workgroup_id_x 1
		.amdhsa_system_sgpr_workgroup_id_y 0
		.amdhsa_system_sgpr_workgroup_id_z 0
		.amdhsa_system_sgpr_workgroup_info 0
		.amdhsa_system_vgpr_workitem_id 0
		.amdhsa_next_free_vgpr 45
		.amdhsa_next_free_sgpr 36
		.amdhsa_accum_offset 48
		.amdhsa_reserve_vcc 1
		.amdhsa_float_round_mode_32 0
		.amdhsa_float_round_mode_16_64 0
		.amdhsa_float_denorm_mode_32 3
		.amdhsa_float_denorm_mode_16_64 3
		.amdhsa_dx10_clamp 1
		.amdhsa_ieee_mode 1
		.amdhsa_fp16_overflow 0
		.amdhsa_tg_split 0
		.amdhsa_exception_fp_ieee_invalid_op 0
		.amdhsa_exception_fp_denorm_src 0
		.amdhsa_exception_fp_ieee_div_zero 0
		.amdhsa_exception_fp_ieee_overflow 0
		.amdhsa_exception_fp_ieee_underflow 0
		.amdhsa_exception_fp_ieee_inexact 0
		.amdhsa_exception_int_div_zero 0
	.end_amdhsa_kernel
	.section	.text._ZN4vllm24reshape_and_cache_kernelIthLNS_18Fp8KVCacheDataTypeE1EEEvPKT_S4_PT0_S6_PKliiiiiiPKfSA_,"axG",@progbits,_ZN4vllm24reshape_and_cache_kernelIthLNS_18Fp8KVCacheDataTypeE1EEEvPKT_S4_PT0_S6_PKliiiiiiPKfSA_,comdat
.Lfunc_end5:
	.size	_ZN4vllm24reshape_and_cache_kernelIthLNS_18Fp8KVCacheDataTypeE1EEEvPKT_S4_PT0_S6_PKliiiiiiPKfSA_, .Lfunc_end5-_ZN4vllm24reshape_and_cache_kernelIthLNS_18Fp8KVCacheDataTypeE1EEEvPKT_S4_PT0_S6_PKliiiiiiPKfSA_
                                        ; -- End function
	.section	.AMDGPU.csdata,"",@progbits
; Kernel info:
; codeLenInByte = 5800
; NumSgprs: 42
; NumVgprs: 45
; NumAgprs: 0
; TotalNumVgprs: 45
; ScratchSize: 0
; MemoryBound: 0
; FloatMode: 240
; IeeeMode: 1
; LDSByteSize: 0 bytes/workgroup (compile time only)
; SGPRBlocks: 5
; VGPRBlocks: 5
; NumSGPRsForWavesPerEU: 42
; NumVGPRsForWavesPerEU: 45
; AccumOffset: 48
; Occupancy: 8
; WaveLimiterHint : 0
; COMPUTE_PGM_RSRC2:SCRATCH_EN: 0
; COMPUTE_PGM_RSRC2:USER_SGPR: 2
; COMPUTE_PGM_RSRC2:TRAP_HANDLER: 0
; COMPUTE_PGM_RSRC2:TGID_X_EN: 1
; COMPUTE_PGM_RSRC2:TGID_Y_EN: 0
; COMPUTE_PGM_RSRC2:TGID_Z_EN: 0
; COMPUTE_PGM_RSRC2:TIDIG_COMP_CNT: 0
; COMPUTE_PGM_RSRC3_GFX90A:ACCUM_OFFSET: 11
; COMPUTE_PGM_RSRC3_GFX90A:TG_SPLIT: 0
	.section	.text._ZN4vllm24reshape_and_cache_kernelI14__hip_bfloat16hLNS_18Fp8KVCacheDataTypeE1EEEvPKT_S5_PT0_S7_PKliiiiiiPKfSB_,"axG",@progbits,_ZN4vllm24reshape_and_cache_kernelI14__hip_bfloat16hLNS_18Fp8KVCacheDataTypeE1EEEvPKT_S5_PT0_S7_PKliiiiiiPKfSB_,comdat
	.protected	_ZN4vllm24reshape_and_cache_kernelI14__hip_bfloat16hLNS_18Fp8KVCacheDataTypeE1EEEvPKT_S5_PT0_S7_PKliiiiiiPKfSB_ ; -- Begin function _ZN4vllm24reshape_and_cache_kernelI14__hip_bfloat16hLNS_18Fp8KVCacheDataTypeE1EEEvPKT_S5_PT0_S7_PKliiiiiiPKfSB_
	.globl	_ZN4vllm24reshape_and_cache_kernelI14__hip_bfloat16hLNS_18Fp8KVCacheDataTypeE1EEEvPKT_S5_PT0_S7_PKliiiiiiPKfSB_
	.p2align	8
	.type	_ZN4vllm24reshape_and_cache_kernelI14__hip_bfloat16hLNS_18Fp8KVCacheDataTypeE1EEEvPKT_S5_PT0_S7_PKliiiiiiPKfSB_,@function
_ZN4vllm24reshape_and_cache_kernelI14__hip_bfloat16hLNS_18Fp8KVCacheDataTypeE1EEEvPKT_S5_PT0_S7_PKliiiiiiPKfSB_: ; @_ZN4vllm24reshape_and_cache_kernelI14__hip_bfloat16hLNS_18Fp8KVCacheDataTypeE1EEEvPKT_S5_PT0_S7_PKliiiiiiPKfSB_
; %bb.0:
	s_load_dwordx2 s[4:5], s[0:1], 0x20
	s_mov_b32 s3, 0
	s_lshl_b64 s[6:7], s[2:3], 3
	s_waitcnt lgkmcnt(0)
	s_add_u32 s4, s4, s6
	s_addc_u32 s5, s5, s7
	s_load_dwordx2 s[14:15], s[4:5], 0x0
	s_waitcnt lgkmcnt(0)
	v_cmp_lt_i64_e64 s[4:5], s[14:15], 0
	s_and_b64 vcc, exec, s[4:5]
	s_cbranch_vccnz .LBB6_27
; %bb.1:
	s_load_dwordx2 s[12:13], s[0:1], 0x38
	s_load_dwordx4 s[8:11], s[0:1], 0x28
	s_waitcnt lgkmcnt(0)
	s_abs_i32 s3, s13
	v_cvt_f32_u32_e32 v1, s3
	s_sub_i32 s6, 0, s3
	s_abs_i32 s5, s11
	s_xor_b32 s4, s11, s13
	v_rcp_iflag_f32_e32 v1, v1
	s_ashr_i32 s4, s4, 31
	v_mul_f32_e32 v1, 0x4f7ffffe, v1
	v_cvt_u32_f32_e32 v1, v1
	s_nop 0
	v_readfirstlane_b32 s7, v1
	s_mul_i32 s6, s6, s7
	s_mul_hi_u32 s6, s7, s6
	s_add_i32 s7, s7, s6
	s_mul_hi_u32 s6, s5, s7
	s_mul_i32 s7, s6, s3
	s_sub_i32 s5, s5, s7
	s_add_i32 s16, s6, 1
	s_sub_i32 s7, s5, s3
	s_cmp_ge_u32 s5, s3
	s_cselect_b32 s6, s16, s6
	s_cselect_b32 s5, s7, s5
	s_add_i32 s7, s6, 1
	s_cmp_ge_u32 s5, s3
	s_cselect_b32 s3, s7, s6
	s_xor_b32 s3, s3, s4
	s_sub_i32 s26, s3, s4
	s_mul_i32 s3, s26, s10
	v_cmp_gt_i32_e32 vcc, s3, v0
	s_and_saveexec_b64 s[4:5], vcc
	s_cbranch_execz .LBB6_27
; %bb.2:
	s_load_dwordx2 s[20:21], s[0:1], 0x0
	s_ashr_i32 s17, s12, 31
	s_mov_b32 s16, s12
	s_or_b64 s[4:5], s[14:15], s[16:17]
	s_mov_b32 s4, 0
	s_cmp_lg_u64 s[4:5], 0
	s_cbranch_scc0 .LBB6_28
; %bb.3:
	s_add_u32 s4, s16, s17
	s_mov_b32 s18, s17
	s_mov_b32 s19, s17
	s_addc_u32 s5, s17, s17
	s_xor_b64 s[22:23], s[4:5], s[18:19]
	v_cvt_f32_u32_e32 v1, s22
	v_cvt_f32_u32_e32 v2, s23
	s_sub_u32 s4, 0, s22
	s_subb_u32 s5, 0, s23
	v_fmamk_f32 v1, v2, 0x4f800000, v1
	v_rcp_f32_e32 v1, v1
	s_nop 0
	v_mul_f32_e32 v1, 0x5f7ffffc, v1
	v_mul_f32_e32 v2, 0x2f800000, v1
	v_trunc_f32_e32 v2, v2
	v_fmamk_f32 v1, v2, 0xcf800000, v1
	v_cvt_u32_f32_e32 v2, v2
	v_cvt_u32_f32_e32 v1, v1
	v_readfirstlane_b32 s24, v2
	v_readfirstlane_b32 s25, v1
	s_mul_i32 s27, s4, s24
	s_mul_hi_u32 s29, s4, s25
	s_mul_i32 s28, s5, s25
	s_add_i32 s27, s29, s27
	s_add_i32 s27, s27, s28
	s_mul_i32 s30, s4, s25
	s_mul_hi_u32 s28, s25, s27
	s_mul_i32 s29, s25, s27
	s_mul_hi_u32 s25, s25, s30
	s_add_u32 s25, s25, s29
	s_addc_u32 s28, 0, s28
	s_mul_hi_u32 s31, s24, s30
	s_mul_i32 s30, s24, s30
	s_add_u32 s25, s25, s30
	s_mul_hi_u32 s29, s24, s27
	s_addc_u32 s25, s28, s31
	s_addc_u32 s28, s29, 0
	s_mul_i32 s27, s24, s27
	s_add_u32 s25, s25, s27
	s_addc_u32 s27, 0, s28
	v_add_co_u32_e32 v1, vcc, s25, v1
	s_cmp_lg_u64 vcc, 0
	s_addc_u32 s24, s24, s27
	v_readfirstlane_b32 s27, v1
	s_mul_i32 s25, s4, s24
	s_mul_hi_u32 s28, s4, s27
	s_add_i32 s25, s28, s25
	s_mul_i32 s5, s5, s27
	s_add_i32 s25, s25, s5
	s_mul_i32 s4, s4, s27
	s_mul_hi_u32 s28, s24, s4
	s_mul_i32 s29, s24, s4
	s_mul_i32 s31, s27, s25
	s_mul_hi_u32 s4, s27, s4
	s_mul_hi_u32 s30, s27, s25
	s_add_u32 s4, s4, s31
	s_addc_u32 s27, 0, s30
	s_add_u32 s4, s4, s29
	s_mul_hi_u32 s5, s24, s25
	s_addc_u32 s4, s27, s28
	s_addc_u32 s5, s5, 0
	s_mul_i32 s25, s24, s25
	s_add_u32 s4, s4, s25
	s_addc_u32 s5, 0, s5
	v_add_co_u32_e32 v1, vcc, s4, v1
	s_cmp_lg_u64 vcc, 0
	s_addc_u32 s27, s24, s5
	s_ashr_i32 s24, s15, 31
	s_add_u32 s4, s14, s24
	s_mov_b32 s25, s24
	s_addc_u32 s5, s15, s24
	s_xor_b64 s[28:29], s[4:5], s[24:25]
	v_readfirstlane_b32 s30, v1
	s_mul_i32 s5, s28, s27
	s_mul_hi_u32 s31, s28, s30
	s_mul_hi_u32 s4, s28, s27
	s_add_u32 s5, s31, s5
	s_addc_u32 s4, 0, s4
	s_mul_hi_u32 s33, s29, s30
	s_mul_i32 s30, s29, s30
	s_add_u32 s5, s5, s30
	s_mul_hi_u32 s31, s29, s27
	s_addc_u32 s4, s4, s33
	s_addc_u32 s5, s31, 0
	s_mul_i32 s27, s29, s27
	s_add_u32 s27, s4, s27
	s_addc_u32 s30, 0, s5
	s_mul_i32 s4, s22, s30
	s_mul_hi_u32 s5, s22, s27
	s_add_i32 s4, s5, s4
	s_mul_i32 s5, s23, s27
	s_add_i32 s31, s4, s5
	s_mul_i32 s5, s22, s27
	v_mov_b32_e32 v1, s5
	s_sub_i32 s4, s29, s31
	v_sub_co_u32_e32 v1, vcc, s28, v1
	s_cmp_lg_u64 vcc, 0
	s_subb_u32 s28, s4, s23
	v_subrev_co_u32_e64 v2, s[4:5], s22, v1
	s_cmp_lg_u64 s[4:5], 0
	s_subb_u32 s4, s28, 0
	s_cmp_ge_u32 s4, s23
	v_readfirstlane_b32 s28, v2
	s_cselect_b32 s5, -1, 0
	s_cmp_ge_u32 s28, s22
	s_cselect_b32 s28, -1, 0
	s_cmp_eq_u32 s4, s23
	s_cselect_b32 s4, s28, s5
	s_add_u32 s5, s27, 1
	s_addc_u32 s28, s30, 0
	s_add_u32 s33, s27, 2
	s_addc_u32 s34, s30, 0
	s_cmp_lg_u32 s4, 0
	s_cselect_b32 s4, s33, s5
	s_cselect_b32 s5, s34, s28
	s_cmp_lg_u64 vcc, 0
	s_subb_u32 s28, s29, s31
	s_cmp_ge_u32 s28, s23
	v_readfirstlane_b32 s31, v1
	s_cselect_b32 s29, -1, 0
	s_cmp_ge_u32 s31, s22
	s_cselect_b32 s22, -1, 0
	s_cmp_eq_u32 s28, s23
	s_cselect_b32 s22, s22, s29
	s_cmp_lg_u32 s22, 0
	s_cselect_b32 s5, s5, s30
	s_cselect_b32 s4, s4, s27
	s_xor_b64 s[18:19], s[24:25], s[18:19]
	s_xor_b64 s[4:5], s[4:5], s[18:19]
	s_sub_u32 s18, s4, s18
	s_subb_u32 s19, s5, s19
	s_cbranch_execnz .LBB6_5
.LBB6_4:
	v_cvt_f32_u32_e32 v1, s16
	s_sub_i32 s4, 0, s16
	s_mov_b32 s19, 0
	v_rcp_iflag_f32_e32 v1, v1
	s_nop 0
	v_mul_f32_e32 v1, 0x4f7ffffe, v1
	v_cvt_u32_f32_e32 v1, v1
	s_nop 0
	v_readfirstlane_b32 s5, v1
	s_mul_i32 s4, s4, s5
	s_mul_hi_u32 s4, s5, s4
	s_add_i32 s5, s5, s4
	s_mul_hi_u32 s4, s14, s5
	s_mul_i32 s6, s4, s16
	s_sub_i32 s6, s14, s6
	s_add_i32 s5, s4, 1
	s_sub_i32 s7, s6, s16
	s_cmp_ge_u32 s6, s16
	s_cselect_b32 s4, s5, s4
	s_cselect_b32 s6, s7, s6
	s_add_i32 s5, s4, 1
	s_cmp_ge_u32 s6, s16
	s_cselect_b32 s18, s5, s4
.LBB6_5:
	s_abs_i32 s24, s26
	v_cvt_f32_u32_e32 v1, s24
	s_sub_i32 s27, 0, s24
	s_ashr_i32 s25, s26, 31
	s_load_dwordx2 s[22:23], s[0:1], 0x10
	s_load_dwordx4 s[4:7], s[0:1], 0x40
	v_rcp_iflag_f32_e32 v1, v1
	s_nop 0
	v_mul_f32_e32 v1, 0x4f7ffffe, v1
	v_cvt_u32_f32_e32 v1, v1
	v_mul_lo_u32 v2, s27, v1
	v_mul_hi_u32 v2, v1, v2
	v_add_u32_e32 v1, v1, v2
	v_mul_hi_u32 v1, v0, v1
	v_mul_lo_u32 v2, v1, s24
	v_sub_u32_e32 v2, v0, v2
	v_add_u32_e32 v3, 1, v1
	v_cmp_le_u32_e32 vcc, s24, v2
	s_mul_hi_i32 s27, s26, s10
	s_mul_i32 s10, s13, s12
	v_cndmask_b32_e32 v1, v1, v3, vcc
	v_subrev_u32_e32 v3, s24, v2
	v_cndmask_b32_e32 v2, v2, v3, vcc
	v_add_u32_e32 v3, 1, v1
	v_cmp_le_u32_e32 vcc, s24, v2
	s_ashr_i32 s24, s8, 31
	s_mul_i32 s24, s24, s2
	v_cndmask_b32_e32 v1, v1, v3, vcc
	v_xor_b32_e32 v1, s25, v1
	v_subrev_u32_e32 v1, s25, v1
	s_mul_hi_u32 s25, s8, s2
	s_add_i32 s25, s25, s24
	s_mul_i32 s24, s8, s2
	v_mul_lo_u32 v2, v1, s26
	s_lshl_b64 s[28:29], s[24:25], 1
	v_sub_u32_e32 v3, v0, v2
	s_waitcnt lgkmcnt(0)
	s_add_u32 s28, s20, s28
	v_mul_lo_u32 v4, v1, s11
	s_addc_u32 s29, s21, s29
	v_ashrrev_i32_e32 v5, 31, v4
	v_mul_lo_u32 v6, v3, s13
	v_lshl_add_u64 v[0:1], v[4:5], 1, s[28:29]
	v_ashrrev_i32_e32 v7, 31, v6
	s_load_dword s28, s[4:5], 0x0
	s_load_dword s26, s[6:7], 0x0
	v_lshl_add_u64 v[12:13], v[6:7], 1, v[0:1]
	s_ashr_i32 s29, s13, 31
	s_and_b32 s4, s13, 7
	v_and_b32_e32 v0, 15, v12
	v_mov_b32_e32 v1, 0
	s_cmp_lg_u32 s4, 0
	v_mul_lo_u32 v8, s10, v2
	v_mul_lo_u32 v10, s10, v3
	v_cmp_ne_u64_e32 vcc, 0, v[0:1]
	s_cselect_b64 s[4:5], -1, 0
	s_mov_b32 s8, s13
	v_ashrrev_i32_e32 v9, 31, v8
	v_ashrrev_i32_e32 v11, 31, v10
	s_or_b64 s[4:5], s[4:5], vcc
	s_and_saveexec_b64 s[6:7], s[4:5]
	s_xor_b64 s[4:5], exec, s[6:7]
	s_cbranch_execz .LBB6_16
; %bb.6:
	v_sub_u32_e32 v0, 0, v12
	v_bfe_u32 v0, v0, 1, 3
	v_min_i32_e32 v14, s13, v0
	v_cmp_lt_i32_e32 vcc, 0, v14
	s_and_saveexec_b64 s[6:7], vcc
	s_cbranch_execz .LBB6_9
; %bb.7:
	s_add_u32 s10, s3, -1
	s_addc_u32 s11, s27, -1
	s_mul_i32 s11, s18, s11
	s_mul_hi_u32 s30, s18, s10
	s_add_i32 s11, s30, s11
	s_mul_i32 s30, s19, s10
	s_mul_i32 s10, s18, s10
	s_add_i32 s11, s11, s30
	s_mul_i32 s30, s10, s17
	s_mul_hi_u32 s31, s10, s16
	s_add_i32 s30, s31, s30
	s_mul_i32 s11, s11, s16
	s_add_i32 s30, s30, s11
	s_mul_i32 s10, s10, s16
	s_add_u32 s10, s14, s10
	s_addc_u32 s11, s15, s30
	s_mul_i32 s11, s11, s8
	s_mul_i32 s30, s10, s29
	v_mov_b32_e32 v0, s8
	s_add_i32 s30, s30, s11
	v_mad_u64_u32 v[0:1], s[10:11], s10, v0, v[8:9]
	v_add_u32_e32 v1, s30, v1
	v_lshl_add_u64 v[0:1], v[0:1], 0, v[10:11]
	v_lshl_add_u64 v[0:1], s[22:23], 0, v[0:1]
	s_mov_b64 s[10:11], 0
	s_mov_b32 s30, 0x7f800000
	s_mov_b32 s31, 0x43700000
	v_mov_b32_e32 v15, 0xc3700000
	v_mov_b32_e32 v16, v14
	v_mov_b64_e32 v[2:3], v[12:13]
.LBB6_8:                                ; =>This Inner Loop Header: Depth=1
	global_load_ushort v17, v[2:3], off
	v_mov_b32_e32 v18, 0
	v_add_u32_e32 v16, -1, v16
	v_lshl_add_u64 v[2:3], v[2:3], 0, 2
	s_waitcnt vmcnt(0)
	v_lshlrev_b32_e32 v17, 16, v17
	s_waitcnt lgkmcnt(0)
	v_div_scale_f32 v19, s[34:35], s28, s28, v17
	v_rcp_f32_e32 v21, v19
	v_div_scale_f32 v20, vcc, v17, s28, v17
	v_fma_f32 v22, -v19, v21, 1.0
	v_fmac_f32_e32 v21, v22, v21
	v_mul_f32_e32 v22, v20, v21
	v_fma_f32 v23, -v19, v22, v20
	v_fmac_f32_e32 v22, v23, v21
	v_fma_f32 v19, -v19, v22, v20
	v_div_fmas_f32 v19, v19, v21, v22
	v_div_fixup_f32 v17, v19, s28, v17
	v_med3_f32 v19, v17, s31, v15
	v_cmp_nlg_f32_e64 vcc, |v17|, s30
	s_nop 1
	v_cndmask_b32_e32 v17, v19, v17, vcc
	v_cvt_pk_fp8_f32 v18, v17, v17
	v_cmp_eq_u32_e32 vcc, 0, v16
	s_or_b64 s[10:11], vcc, s[10:11]
	global_store_byte v[0:1], v18, off
	v_lshl_add_u64 v[0:1], v[0:1], 0, 1
	s_andn2_b64 exec, exec, s[10:11]
	s_cbranch_execnz .LBB6_8
.LBB6_9:
	s_or_b64 exec, exec, s[6:7]
	v_sub_u32_e32 v18, s13, v14
	v_ashrrev_i32_e32 v0, 31, v18
	v_lshrrev_b32_e32 v0, 29, v0
	v_add_u32_e32 v0, v18, v0
	v_ashrrev_i32_e32 v15, 31, v14
	v_ashrrev_i32_e32 v19, 3, v0
	v_cmp_lt_i32_e32 vcc, 7, v18
	s_and_saveexec_b64 s[6:7], vcc
	s_cbranch_execz .LBB6_12
; %bb.10:
	s_add_u32 s10, s3, -1
	s_addc_u32 s11, s27, -1
	s_mul_i32 s11, s18, s11
	s_mul_hi_u32 s30, s18, s10
	s_add_i32 s11, s30, s11
	s_mul_i32 s30, s19, s10
	s_mul_i32 s10, s18, s10
	s_add_i32 s11, s11, s30
	s_mul_i32 s30, s10, s17
	s_mul_hi_u32 s31, s10, s16
	s_add_i32 s30, s31, s30
	s_mul_i32 s11, s11, s16
	s_add_i32 s30, s30, s11
	s_mul_i32 s10, s10, s16
	s_add_u32 s10, s14, s10
	s_addc_u32 s11, s15, s30
	s_mul_i32 s11, s11, s8
	s_mul_i32 s30, s10, s29
	v_mov_b32_e32 v0, s8
	s_add_i32 s30, s30, s11
	v_mad_u64_u32 v[0:1], s[10:11], s10, v0, v[14:15]
	v_add_u32_e32 v1, s30, v1
	v_lshl_add_u64 v[0:1], v[0:1], 0, v[8:9]
	v_lshl_add_u64 v[0:1], v[0:1], 0, v[10:11]
	;; [unrolled: 1-line block ×4, first 2 shown]
	s_mov_b64 s[10:11], 0
	s_mov_b32 s30, 0x7f800000
	s_mov_b32 s31, 0x43700000
	v_mov_b32_e32 v20, 0xc3700000
	s_mov_b32 s33, 0x4020c0c
	v_mov_b32_e32 v21, 8
	v_mov_b32_e32 v22, v19
.LBB6_11:                               ; =>This Inner Loop Header: Depth=1
	global_load_dwordx4 v[0:3], v[12:13], off
	v_add_u32_e32 v22, -1, v22
	v_lshl_add_u64 v[12:13], v[12:13], 0, 16
	s_waitcnt vmcnt(0)
	v_lshlrev_b32_e32 v23, 16, v0
	s_waitcnt lgkmcnt(0)
	v_div_scale_f32 v24, s[34:35], s28, s28, v23
	v_rcp_f32_e32 v25, v24
	v_and_b32_e32 v0, 0xffff0000, v0
	v_fma_f32 v26, -v24, v25, 1.0
	v_fmac_f32_e32 v25, v26, v25
	v_div_scale_f32 v26, vcc, v23, s28, v23
	v_mul_f32_e32 v27, v26, v25
	v_fma_f32 v28, -v24, v27, v26
	v_fmac_f32_e32 v27, v28, v25
	v_fma_f32 v24, -v24, v27, v26
	v_div_fmas_f32 v24, v24, v25, v27
	v_div_fixup_f32 v23, v24, s28, v23
	v_cmp_nlg_f32_e64 vcc, |v23|, s30
	v_med3_f32 v24, v23, s31, v20
	s_nop 0
	v_cndmask_b32_e32 v24, v24, v23, vcc
	v_mov_b32_e32 v23, 0
	v_cvt_pk_fp8_f32 v23, v24, v24
	v_div_scale_f32 v24, s[34:35], s28, s28, v0
	v_rcp_f32_e32 v25, v24
	s_nop 0
	v_fma_f32 v26, -v24, v25, 1.0
	v_fmac_f32_e32 v25, v26, v25
	v_div_scale_f32 v26, vcc, v0, s28, v0
	v_mul_f32_e32 v27, v26, v25
	v_fma_f32 v28, -v24, v27, v26
	v_fmac_f32_e32 v27, v28, v25
	v_fma_f32 v24, -v24, v27, v26
	v_div_fmas_f32 v24, v24, v25, v27
	v_div_fixup_f32 v0, v24, s28, v0
	v_cmp_nlg_f32_e64 vcc, |v0|, s30
	v_med3_f32 v24, v0, s31, v20
	s_nop 0
	v_cndmask_b32_e32 v0, v24, v0, vcc
	v_mov_b32_e32 v24, 0
	v_cvt_pk_fp8_f32 v24, v0, v0
	v_lshlrev_b32_e32 v0, 16, v1
	v_div_scale_f32 v25, s[34:35], s28, s28, v0
	v_rcp_f32_e32 v26, v25
	s_nop 0
	v_fma_f32 v27, -v25, v26, 1.0
	v_fmac_f32_e32 v26, v27, v26
	v_div_scale_f32 v27, vcc, v0, s28, v0
	v_mul_f32_e32 v28, v27, v26
	v_fma_f32 v29, -v25, v28, v27
	v_fmac_f32_e32 v28, v29, v26
	v_fma_f32 v25, -v25, v28, v27
	v_div_fmas_f32 v25, v25, v26, v28
	v_div_fixup_f32 v0, v25, s28, v0
	v_cmp_nlg_f32_e64 vcc, |v0|, s30
	v_med3_f32 v25, v0, s31, v20
	s_nop 0
	v_cndmask_b32_e32 v0, v25, v0, vcc
	v_mov_b32_e32 v25, 0
	v_cvt_pk_fp8_f32 v25, v0, v0
	v_and_b32_e32 v0, 0xffff0000, v1
	v_div_scale_f32 v1, s[34:35], s28, s28, v0
	v_rcp_f32_e32 v26, v1
	s_nop 0
	v_fma_f32 v27, -v1, v26, 1.0
	v_fmac_f32_e32 v26, v27, v26
	v_div_scale_f32 v27, vcc, v0, s28, v0
	v_mul_f32_e32 v28, v27, v26
	v_fma_f32 v29, -v1, v28, v27
	v_fmac_f32_e32 v28, v29, v26
	v_fma_f32 v1, -v1, v28, v27
	v_div_fmas_f32 v1, v1, v26, v28
	v_div_fixup_f32 v0, v1, s28, v0
	v_cmp_nlg_f32_e64 vcc, |v0|, s30
	v_med3_f32 v1, v0, s31, v20
	v_mov_b32_e32 v26, 0
	v_cndmask_b32_e32 v0, v1, v0, vcc
	v_cvt_pk_fp8_f32 v26, v0, v0
	v_lshlrev_b32_e32 v0, 16, v2
	v_div_scale_f32 v1, s[34:35], s28, s28, v0
	v_rcp_f32_e32 v27, v1
	s_nop 0
	v_fma_f32 v28, -v1, v27, 1.0
	v_fmac_f32_e32 v27, v28, v27
	v_div_scale_f32 v28, vcc, v0, s28, v0
	v_mul_f32_e32 v29, v28, v27
	v_fma_f32 v30, -v1, v29, v28
	v_fmac_f32_e32 v29, v30, v27
	v_fma_f32 v1, -v1, v29, v28
	v_div_fmas_f32 v1, v1, v27, v29
	v_div_fixup_f32 v0, v1, s28, v0
	v_cmp_nlg_f32_e64 vcc, |v0|, s30
	v_med3_f32 v1, v0, s31, v20
	s_nop 0
	v_cndmask_b32_e32 v0, v1, v0, vcc
	v_mov_b32_e32 v1, 0
	v_cvt_pk_fp8_f32 v1, v0, v0
	v_and_b32_e32 v0, 0xffff0000, v2
	v_div_scale_f32 v2, s[34:35], s28, s28, v0
	v_rcp_f32_e32 v27, v2
	v_and_b32_e32 v1, 0xff, v1
	v_fma_f32 v28, -v2, v27, 1.0
	v_fmac_f32_e32 v27, v28, v27
	v_div_scale_f32 v28, vcc, v0, s28, v0
	v_mul_f32_e32 v29, v28, v27
	v_fma_f32 v30, -v2, v29, v28
	v_fmac_f32_e32 v29, v30, v27
	v_fma_f32 v2, -v2, v29, v28
	v_div_fmas_f32 v2, v2, v27, v29
	v_div_fixup_f32 v0, v2, s28, v0
	v_cmp_nlg_f32_e64 vcc, |v0|, s30
	v_med3_f32 v2, v0, s31, v20
	s_nop 0
	v_cndmask_b32_e32 v0, v2, v0, vcc
	v_mov_b32_e32 v2, 0
	v_cvt_pk_fp8_f32 v2, v0, v0
	v_lshlrev_b32_e32 v0, 16, v3
	v_div_scale_f32 v27, s[34:35], s28, s28, v0
	v_rcp_f32_e32 v28, v27
	v_lshlrev_b32_sdwa v2, v21, v2 dst_sel:DWORD dst_unused:UNUSED_PAD src0_sel:DWORD src1_sel:BYTE_0
	v_fma_f32 v29, -v27, v28, 1.0
	v_fmac_f32_e32 v28, v29, v28
	v_div_scale_f32 v29, vcc, v0, s28, v0
	v_mul_f32_e32 v30, v29, v28
	v_fma_f32 v31, -v27, v30, v29
	v_fmac_f32_e32 v30, v31, v28
	v_fma_f32 v27, -v27, v30, v29
	v_div_fmas_f32 v27, v27, v28, v30
	v_div_fixup_f32 v0, v27, s28, v0
	v_cmp_nlg_f32_e64 vcc, |v0|, s30
	v_med3_f32 v27, v0, s31, v20
	s_nop 0
	v_cndmask_b32_e32 v0, v27, v0, vcc
	v_mov_b32_e32 v27, 0
	v_cvt_pk_fp8_f32 v27, v0, v0
	v_and_b32_e32 v0, 0xffff0000, v3
	v_div_scale_f32 v3, s[34:35], s28, s28, v0
	v_rcp_f32_e32 v28, v3
	s_nop 0
	v_fma_f32 v29, -v3, v28, 1.0
	v_fmac_f32_e32 v28, v29, v28
	v_div_scale_f32 v29, vcc, v0, s28, v0
	v_mul_f32_e32 v30, v29, v28
	v_fma_f32 v31, -v3, v30, v29
	v_fmac_f32_e32 v30, v31, v28
	v_fma_f32 v3, -v3, v30, v29
	v_div_fmas_f32 v3, v3, v28, v30
	v_div_fixup_f32 v0, v3, s28, v0
	v_cmp_nlg_f32_e64 vcc, |v0|, s30
	v_med3_f32 v3, v0, s31, v20
	s_nop 0
	v_cndmask_b32_e32 v0, v3, v0, vcc
	v_mov_b32_e32 v3, 0
	v_cvt_pk_fp8_f32 v3, v0, v0
	v_cmp_eq_u32_e32 vcc, 0, v22
	s_or_b64 s[10:11], vcc, s[10:11]
	v_lshlrev_b32_e32 v0, 24, v3
	v_and_b32_e32 v3, 0xff, v27
	v_lshlrev_b32_e32 v3, 16, v3
	v_or_b32_e32 v0, v0, v3
	v_or3_b32 v1, v0, v2, v1
	v_lshlrev_b32_e32 v0, 16, v25
	v_lshlrev_b32_e32 v2, 8, v24
	v_perm_b32 v0, v26, v0, s33
	v_and_b32_e32 v3, 0xff, v23
	v_and_b32_e32 v2, 0xff00, v2
	v_or3_b32 v0, v0, v2, v3
	global_store_dwordx2 v[16:17], v[0:1], off
	v_lshl_add_u64 v[16:17], v[16:17], 0, 8
	s_andn2_b64 exec, exec, s[10:11]
	s_cbranch_execnz .LBB6_11
.LBB6_12:
	s_or_b64 exec, exec, s[6:7]
	v_lshlrev_b32_e32 v0, 3, v19
	v_cmp_lt_i32_e32 vcc, v0, v18
	s_and_saveexec_b64 s[6:7], vcc
	s_cbranch_execz .LBB6_15
; %bb.13:
	v_lshlrev_b64 v[2:3], 1, v[14:15]
	v_lshl_add_u64 v[2:3], s[24:25], 1, v[2:3]
	v_lshl_add_u64 v[2:3], v[6:7], 1, v[2:3]
	;; [unrolled: 1-line block ×3, first 2 shown]
	v_ashrrev_i32_e32 v1, 31, v0
	s_add_u32 s10, s3, -1
	v_lshl_add_u64 v[2:3], v[0:1], 1, v[2:3]
	s_addc_u32 s11, s27, -1
	v_lshl_add_u64 v[2:3], s[20:21], 0, v[2:3]
	s_mul_i32 s11, s18, s11
	s_mul_hi_u32 s20, s18, s10
	s_add_i32 s11, s20, s11
	s_mul_i32 s20, s19, s10
	s_mul_i32 s10, s18, s10
	s_add_i32 s11, s11, s20
	s_mul_i32 s20, s10, s17
	s_mul_hi_u32 s21, s10, s16
	s_add_i32 s20, s21, s20
	s_mul_i32 s11, s11, s16
	s_add_i32 s20, s20, s11
	s_mul_i32 s10, s10, s16
	s_add_u32 s10, s14, s10
	s_addc_u32 s11, s15, s20
	s_mul_i32 s11, s11, s8
	s_mul_i32 s20, s10, s29
	v_mov_b32_e32 v12, s8
	s_add_i32 s20, s20, s11
	v_mad_u64_u32 v[12:13], s[10:11], s10, v12, v[14:15]
	v_add_u32_e32 v13, s20, v13
	v_lshl_add_u64 v[12:13], v[12:13], 0, v[8:9]
	v_lshl_add_u64 v[10:11], v[12:13], 0, v[10:11]
	;; [unrolled: 1-line block ×4, first 2 shown]
	s_mov_b64 s[10:11], 0
	s_mov_b32 s20, 0x7f800000
	s_mov_b32 s21, 0x43700000
	v_mov_b32_e32 v1, 0xc3700000
.LBB6_14:                               ; =>This Inner Loop Header: Depth=1
	global_load_ushort v12, v[2:3], off
	v_mov_b32_e32 v13, 0
	v_add_u32_e32 v0, 1, v0
	v_lshl_add_u64 v[2:3], v[2:3], 0, 2
	s_waitcnt vmcnt(0)
	v_lshlrev_b32_e32 v12, 16, v12
	s_waitcnt lgkmcnt(0)
	v_div_scale_f32 v14, s[24:25], s28, s28, v12
	v_rcp_f32_e32 v16, v14
	v_div_scale_f32 v15, vcc, v12, s28, v12
	v_fma_f32 v17, -v14, v16, 1.0
	v_fmac_f32_e32 v16, v17, v16
	v_mul_f32_e32 v17, v15, v16
	v_fma_f32 v19, -v14, v17, v15
	v_fmac_f32_e32 v17, v19, v16
	v_fma_f32 v14, -v14, v17, v15
	v_div_fmas_f32 v14, v14, v16, v17
	v_div_fixup_f32 v12, v14, s28, v12
	v_med3_f32 v14, v12, s21, v1
	v_cmp_nlg_f32_e64 vcc, |v12|, s20
	s_nop 1
	v_cndmask_b32_e32 v12, v14, v12, vcc
	v_cvt_pk_fp8_f32 v13, v12, v12
	v_cmp_ge_i32_e32 vcc, v0, v18
	s_or_b64 s[10:11], vcc, s[10:11]
	global_store_byte v[10:11], v13, off
	v_lshl_add_u64 v[10:11], v[10:11], 0, 1
	s_andn2_b64 exec, exec, s[10:11]
	s_cbranch_execnz .LBB6_14
.LBB6_15:
	s_or_b64 exec, exec, s[6:7]
                                        ; implicit-def: $vgpr12_vgpr13
                                        ; implicit-def: $vgpr10_vgpr11
.LBB6_16:
	s_andn2_saveexec_b64 s[4:5], s[4:5]
	s_cbranch_execz .LBB6_20
; %bb.17:
	s_ashr_i32 s6, s13, 3
	s_cmp_lt_i32 s6, 1
	s_cbranch_scc1 .LBB6_20
; %bb.18:
	s_add_u32 s7, s3, -1
	s_addc_u32 s10, s27, -1
	s_mul_i32 s10, s18, s10
	s_mul_hi_u32 s11, s18, s7
	s_add_i32 s10, s11, s10
	s_mul_i32 s11, s19, s7
	s_mul_i32 s7, s18, s7
	s_add_i32 s10, s10, s11
	s_mul_i32 s11, s7, s17
	s_mul_hi_u32 s20, s7, s16
	s_add_i32 s11, s20, s11
	s_mul_i32 s10, s10, s16
	s_add_i32 s11, s11, s10
	s_mul_i32 s7, s7, s16
	s_add_u32 s7, s14, s7
	s_addc_u32 s10, s15, s11
	s_mul_i32 s10, s10, s8
	s_mul_i32 s11, s7, s29
	v_mov_b32_e32 v0, s8
	s_add_i32 s20, s11, s10
	v_mad_u64_u32 v[0:1], s[10:11], s7, v0, v[8:9]
	v_add_u32_e32 v1, s20, v1
	v_lshl_add_u64 v[0:1], v[0:1], 0, v[10:11]
	v_lshl_add_u64 v[10:11], s[22:23], 0, v[0:1]
	s_mov_b32 s7, 0x7f800000
	s_mov_b32 s10, 0x43700000
	v_mov_b32_e32 v14, 0xc3700000
	s_mov_b32 s11, 0x4020c0c
	v_mov_b32_e32 v15, 8
.LBB6_19:                               ; =>This Inner Loop Header: Depth=1
	global_load_dwordx4 v[0:3], v[12:13], off
	s_add_i32 s6, s6, -1
	v_lshl_add_u64 v[12:13], v[12:13], 0, 16
	s_cmp_eq_u32 s6, 0
	s_waitcnt vmcnt(0)
	v_lshlrev_b32_e32 v16, 16, v0
	s_waitcnt lgkmcnt(0)
	v_div_scale_f32 v17, s[20:21], s28, s28, v16
	v_rcp_f32_e32 v18, v17
	v_and_b32_e32 v0, 0xffff0000, v0
	v_fma_f32 v19, -v17, v18, 1.0
	v_fmac_f32_e32 v18, v19, v18
	v_div_scale_f32 v19, vcc, v16, s28, v16
	v_mul_f32_e32 v20, v19, v18
	v_fma_f32 v21, -v17, v20, v19
	v_fmac_f32_e32 v20, v21, v18
	v_fma_f32 v17, -v17, v20, v19
	v_div_fmas_f32 v17, v17, v18, v20
	v_div_fixup_f32 v16, v17, s28, v16
	v_cmp_nlg_f32_e64 vcc, |v16|, s7
	v_med3_f32 v17, v16, s10, v14
	s_nop 0
	v_cndmask_b32_e32 v17, v17, v16, vcc
	v_mov_b32_e32 v16, 0
	v_cvt_pk_fp8_f32 v16, v17, v17
	v_div_scale_f32 v17, s[20:21], s28, s28, v0
	v_rcp_f32_e32 v18, v17
	s_nop 0
	v_fma_f32 v19, -v17, v18, 1.0
	v_fmac_f32_e32 v18, v19, v18
	v_div_scale_f32 v19, vcc, v0, s28, v0
	v_mul_f32_e32 v20, v19, v18
	v_fma_f32 v21, -v17, v20, v19
	v_fmac_f32_e32 v20, v21, v18
	v_fma_f32 v17, -v17, v20, v19
	v_div_fmas_f32 v17, v17, v18, v20
	v_div_fixup_f32 v0, v17, s28, v0
	v_cmp_nlg_f32_e64 vcc, |v0|, s7
	v_med3_f32 v17, v0, s10, v14
	s_nop 0
	v_cndmask_b32_e32 v0, v17, v0, vcc
	v_mov_b32_e32 v17, 0
	v_cvt_pk_fp8_f32 v17, v0, v0
	v_lshlrev_b32_e32 v0, 16, v1
	v_div_scale_f32 v18, s[20:21], s28, s28, v0
	v_rcp_f32_e32 v19, v18
	s_nop 0
	v_fma_f32 v20, -v18, v19, 1.0
	v_fmac_f32_e32 v19, v20, v19
	v_div_scale_f32 v20, vcc, v0, s28, v0
	v_mul_f32_e32 v21, v20, v19
	v_fma_f32 v22, -v18, v21, v20
	v_fmac_f32_e32 v21, v22, v19
	v_fma_f32 v18, -v18, v21, v20
	v_div_fmas_f32 v18, v18, v19, v21
	v_div_fixup_f32 v0, v18, s28, v0
	v_cmp_nlg_f32_e64 vcc, |v0|, s7
	v_med3_f32 v18, v0, s10, v14
	s_nop 0
	v_cndmask_b32_e32 v0, v18, v0, vcc
	v_mov_b32_e32 v18, 0
	v_cvt_pk_fp8_f32 v18, v0, v0
	v_and_b32_e32 v0, 0xffff0000, v1
	v_div_scale_f32 v1, s[20:21], s28, s28, v0
	v_rcp_f32_e32 v19, v1
	s_nop 0
	v_fma_f32 v20, -v1, v19, 1.0
	v_fmac_f32_e32 v19, v20, v19
	v_div_scale_f32 v20, vcc, v0, s28, v0
	v_mul_f32_e32 v21, v20, v19
	v_fma_f32 v22, -v1, v21, v20
	v_fmac_f32_e32 v21, v22, v19
	v_fma_f32 v1, -v1, v21, v20
	v_div_fmas_f32 v1, v1, v19, v21
	v_div_fixup_f32 v0, v1, s28, v0
	v_cmp_nlg_f32_e64 vcc, |v0|, s7
	v_med3_f32 v1, v0, s10, v14
	v_mov_b32_e32 v19, 0
	v_cndmask_b32_e32 v0, v1, v0, vcc
	v_cvt_pk_fp8_f32 v19, v0, v0
	v_lshlrev_b32_e32 v0, 16, v2
	v_div_scale_f32 v1, s[20:21], s28, s28, v0
	v_rcp_f32_e32 v20, v1
	s_nop 0
	v_fma_f32 v21, -v1, v20, 1.0
	v_fmac_f32_e32 v20, v21, v20
	v_div_scale_f32 v21, vcc, v0, s28, v0
	v_mul_f32_e32 v22, v21, v20
	v_fma_f32 v23, -v1, v22, v21
	v_fmac_f32_e32 v22, v23, v20
	v_fma_f32 v1, -v1, v22, v21
	v_div_fmas_f32 v1, v1, v20, v22
	v_div_fixup_f32 v0, v1, s28, v0
	v_cmp_nlg_f32_e64 vcc, |v0|, s7
	v_med3_f32 v1, v0, s10, v14
	s_nop 0
	v_cndmask_b32_e32 v0, v1, v0, vcc
	v_mov_b32_e32 v1, 0
	v_cvt_pk_fp8_f32 v1, v0, v0
	v_and_b32_e32 v0, 0xffff0000, v2
	v_div_scale_f32 v2, s[20:21], s28, s28, v0
	v_rcp_f32_e32 v20, v2
	v_and_b32_e32 v1, 0xff, v1
	v_fma_f32 v21, -v2, v20, 1.0
	v_fmac_f32_e32 v20, v21, v20
	v_div_scale_f32 v21, vcc, v0, s28, v0
	v_mul_f32_e32 v22, v21, v20
	v_fma_f32 v23, -v2, v22, v21
	v_fmac_f32_e32 v22, v23, v20
	v_fma_f32 v2, -v2, v22, v21
	v_div_fmas_f32 v2, v2, v20, v22
	v_div_fixup_f32 v0, v2, s28, v0
	v_cmp_nlg_f32_e64 vcc, |v0|, s7
	v_med3_f32 v2, v0, s10, v14
	s_nop 0
	v_cndmask_b32_e32 v0, v2, v0, vcc
	v_mov_b32_e32 v2, 0
	v_cvt_pk_fp8_f32 v2, v0, v0
	v_lshlrev_b32_e32 v0, 16, v3
	v_div_scale_f32 v20, s[20:21], s28, s28, v0
	v_rcp_f32_e32 v21, v20
	v_lshlrev_b32_sdwa v2, v15, v2 dst_sel:DWORD dst_unused:UNUSED_PAD src0_sel:DWORD src1_sel:BYTE_0
	v_fma_f32 v22, -v20, v21, 1.0
	v_fmac_f32_e32 v21, v22, v21
	v_div_scale_f32 v22, vcc, v0, s28, v0
	v_mul_f32_e32 v23, v22, v21
	v_fma_f32 v24, -v20, v23, v22
	v_fmac_f32_e32 v23, v24, v21
	v_fma_f32 v20, -v20, v23, v22
	v_div_fmas_f32 v20, v20, v21, v23
	v_div_fixup_f32 v0, v20, s28, v0
	v_cmp_nlg_f32_e64 vcc, |v0|, s7
	v_med3_f32 v20, v0, s10, v14
	s_nop 0
	v_cndmask_b32_e32 v0, v20, v0, vcc
	v_mov_b32_e32 v20, 0
	v_cvt_pk_fp8_f32 v20, v0, v0
	v_and_b32_e32 v0, 0xffff0000, v3
	v_div_scale_f32 v3, s[20:21], s28, s28, v0
	v_rcp_f32_e32 v21, v3
	s_nop 0
	v_fma_f32 v22, -v3, v21, 1.0
	v_fmac_f32_e32 v21, v22, v21
	v_div_scale_f32 v22, vcc, v0, s28, v0
	v_mul_f32_e32 v23, v22, v21
	v_fma_f32 v24, -v3, v23, v22
	v_fmac_f32_e32 v23, v24, v21
	v_fma_f32 v3, -v3, v23, v22
	v_div_fmas_f32 v3, v3, v21, v23
	v_div_fixup_f32 v0, v3, s28, v0
	v_cmp_nlg_f32_e64 vcc, |v0|, s7
	v_med3_f32 v3, v0, s10, v14
	s_nop 0
	v_cndmask_b32_e32 v0, v3, v0, vcc
	v_mov_b32_e32 v3, 0
	v_cvt_pk_fp8_f32 v3, v0, v0
	v_lshlrev_b32_e32 v0, 24, v3
	v_and_b32_e32 v3, 0xff, v20
	v_lshlrev_b32_e32 v3, 16, v3
	v_or_b32_e32 v0, v0, v3
	v_or3_b32 v1, v0, v2, v1
	v_lshlrev_b32_e32 v0, 16, v18
	v_lshlrev_b32_e32 v2, 8, v17
	v_perm_b32 v0, v19, v0, s11
	v_and_b32_e32 v3, 0xff, v16
	v_and_b32_e32 v2, 0xff00, v2
	v_or3_b32 v0, v0, v2, v3
	global_store_dwordx2 v[10:11], v[0:1], off
	v_lshl_add_u64 v[10:11], v[10:11], 0, 8
	s_cbranch_scc0 .LBB6_19
.LBB6_20:
	s_or_b64 exec, exec, s[4:5]
	s_cmp_lt_i32 s13, 1
	s_cbranch_scc1 .LBB6_27
; %bb.21:
	s_load_dwordx2 s[6:7], s[0:1], 0x8
	s_load_dwordx2 s[4:5], s[0:1], 0x18
	s_mul_i32 s0, s18, s17
	s_mul_hi_u32 s1, s18, s16
	s_add_i32 s0, s1, s0
	s_mul_i32 s1, s19, s16
	s_add_i32 s1, s0, s1
	s_mul_i32 s0, s18, s16
	s_sub_u32 s0, s14, s0
	s_mul_i32 s10, s3, s19
	s_mul_hi_u32 s11, s3, s18
	s_subb_u32 s1, s15, s1
	s_add_i32 s10, s11, s10
	s_mul_i32 s27, s27, s18
	s_add_i32 s10, s10, s27
	s_mul_i32 s3, s3, s18
	s_mul_hi_i32 s11, s8, s16
	s_mul_i32 s8, s8, s16
	s_mul_hi_u32 s14, s8, s3
	s_mul_i32 s10, s8, s10
	s_add_i32 s10, s14, s10
	s_mul_i32 s11, s11, s3
	s_add_i32 s10, s10, s11
	s_mul_i32 s8, s8, s3
	s_waitcnt lgkmcnt(0)
	s_add_u32 s4, s4, s8
	v_mul_lo_u32 v0, v6, s12
	s_addc_u32 s5, s5, s10
	v_ashrrev_i32_e32 v1, 31, v0
	v_lshl_add_u64 v[2:3], s[4:5], 0, v[8:9]
	v_lshl_add_u64 v[0:1], v[2:3], 0, v[0:1]
	s_ashr_i32 s15, s9, 31
	v_lshl_add_u64 v[0:1], v[0:1], 0, s[0:1]
	s_mov_b32 s14, 0
	s_cmp_lt_u32 s13, 4
	s_mul_i32 s15, s15, s2
	s_mul_hi_u32 s16, s9, s2
	s_mul_i32 s8, s9, s2
	v_lshlrev_b64 v[2:3], 1, v[6:7]
	s_cbranch_scc1 .LBB6_24
; %bb.22:
	s_add_i32 s9, s16, s15
	v_lshl_add_u64 v[6:7], s[8:9], 1, v[2:3]
	v_lshl_add_u64 v[6:7], v[4:5], 1, v[6:7]
	;; [unrolled: 1-line block ×3, first 2 shown]
	s_and_b32 s14, s13, 0x7ffffffc
	s_lshl_b32 s17, s12, 2
	s_lshl_b32 s18, s12, 1
	s_mul_i32 s19, s12, 3
	v_lshl_add_u64 v[6:7], v[6:7], 0, 4
	s_mov_b32 s10, 0
	s_mov_b32 s9, 0x7f800000
	;; [unrolled: 1-line block ×3, first 2 shown]
	v_mov_b32_e32 v8, 0xc3700000
	s_mov_b32 s21, 0
.LBB6_23:                               ; =>This Inner Loop Header: Depth=1
	global_load_dwordx2 v[10:11], v[6:7], off offset:-4
	s_add_i32 s0, s12, s10
	s_ashr_i32 s1, s0, 31
	s_add_i32 s2, s18, s10
	v_lshl_add_u64 v[14:15], v[0:1], 0, s[0:1]
	s_ashr_i32 s3, s2, 31
	s_add_i32 s4, s19, s10
	v_lshl_add_u64 v[16:17], v[0:1], 0, s[2:3]
	s_ashr_i32 s5, s4, 31
	v_lshl_add_u64 v[18:19], v[0:1], 0, s[4:5]
	v_mov_b32_e32 v9, 0
	v_mov_b32_e32 v20, 0
	s_ashr_i32 s11, s10, 31
	v_mov_b32_e32 v21, 0
	v_mov_b32_e32 v22, 0
	s_add_i32 s21, s21, 4
	v_lshl_add_u64 v[12:13], v[0:1], 0, s[10:11]
	s_add_i32 s10, s10, s17
	v_lshl_add_u64 v[6:7], v[6:7], 0, 8
	s_cmp_lg_u32 s14, s21
	s_waitcnt vmcnt(0)
	v_lshlrev_b32_e32 v23, 16, v10
	v_and_b32_e32 v10, 0xffff0000, v10
	v_div_scale_f32 v25, s[0:1], s26, s26, v23
	v_lshlrev_b32_e32 v24, 16, v11
	v_div_scale_f32 v27, s[0:1], s26, s26, v10
	v_rcp_f32_e32 v33, v25
	v_div_scale_f32 v29, s[2:3], s26, s26, v24
	v_rcp_f32_e32 v34, v27
	v_and_b32_e32 v11, 0xffff0000, v11
	v_rcp_f32_e32 v35, v29
	v_div_scale_f32 v31, s[4:5], s26, s26, v11
	v_rcp_f32_e32 v36, v31
	v_fma_f32 v37, -v25, v33, 1.0
	v_div_scale_f32 v26, vcc, v23, s26, v23
	v_fma_f32 v38, -v27, v34, 1.0
	v_fmac_f32_e32 v33, v37, v33
	v_div_scale_f32 v28, s[0:1], v10, s26, v10
	v_fma_f32 v39, -v29, v35, 1.0
	v_fmac_f32_e32 v34, v38, v34
	v_mul_f32_e32 v37, v26, v33
	v_div_scale_f32 v30, s[2:3], v24, s26, v24
	v_fmac_f32_e32 v35, v39, v35
	v_mul_f32_e32 v38, v28, v34
	v_fma_f32 v41, -v25, v37, v26
	v_fma_f32 v40, -v31, v36, 1.0
	v_mul_f32_e32 v39, v30, v35
	v_fma_f32 v42, -v27, v38, v28
	v_fmac_f32_e32 v37, v41, v33
	v_div_scale_f32 v32, s[4:5], v11, s26, v11
	v_fmac_f32_e32 v36, v40, v36
	v_fma_f32 v43, -v29, v39, v30
	v_fmac_f32_e32 v38, v42, v34
	v_fma_f32 v25, -v25, v37, v26
	v_mul_f32_e32 v40, v32, v36
	v_fmac_f32_e32 v39, v43, v35
	v_fma_f32 v26, -v27, v38, v28
	v_div_fmas_f32 v25, v25, v33, v37
	s_mov_b64 vcc, s[0:1]
	v_fma_f32 v44, -v31, v40, v32
	v_fma_f32 v27, -v29, v39, v30
	v_div_fixup_f32 v23, v25, s26, v23
	v_div_fmas_f32 v25, v26, v34, v38
	s_mov_b64 vcc, s[2:3]
	v_fmac_f32_e32 v40, v44, v36
	v_med3_f32 v26, v23, s20, v8
	v_div_fixup_f32 v10, v25, s26, v10
	v_div_fmas_f32 v25, v27, v35, v39
	v_cmp_nlg_f32_e64 vcc, |v23|, s9
	v_fma_f32 v28, -v31, v40, v32
	v_div_fixup_f32 v24, v25, s26, v24
	v_cndmask_b32_e32 v23, v26, v23, vcc
	s_mov_b64 vcc, s[4:5]
	v_med3_f32 v26, v10, s20, v8
	v_div_fmas_f32 v25, v28, v36, v40
	v_cmp_nlg_f32_e64 vcc, |v10|, s9
	v_cvt_pk_fp8_f32 v9, v23, v23
	v_med3_f32 v23, v24, s20, v8
	v_cndmask_b32_e32 v10, v26, v10, vcc
	v_div_fixup_f32 v11, v25, s26, v11
	v_cmp_nlg_f32_e64 vcc, |v24|, s9
	v_cvt_pk_fp8_f32 v20, v10, v10
	s_nop 0
	v_cndmask_b32_e32 v10, v23, v24, vcc
	v_med3_f32 v23, v11, s20, v8
	v_cmp_nlg_f32_e64 vcc, |v11|, s9
	v_cvt_pk_fp8_f32 v21, v10, v10
	s_nop 0
	v_cndmask_b32_e32 v10, v23, v11, vcc
	v_cvt_pk_fp8_f32 v22, v10, v10
	global_store_byte v[12:13], v9, off
	global_store_byte v[14:15], v20, off
	global_store_byte v[16:17], v21, off
	global_store_byte v[18:19], v22, off
	s_cbranch_scc1 .LBB6_23
.LBB6_24:
	s_and_b32 s2, s13, 3
	s_cmp_eq_u32 s2, 0
	s_cbranch_scc1 .LBB6_27
; %bb.25:
	s_add_i32 s9, s16, s15
	s_lshl_b32 s0, s14, 1
	v_lshl_add_u64 v[2:3], s[8:9], 1, v[2:3]
	s_add_u32 s0, s6, s0
	v_lshl_add_u64 v[2:3], v[4:5], 1, v[2:3]
	s_addc_u32 s1, s7, 0
	v_lshl_add_u64 v[2:3], s[0:1], 0, v[2:3]
	s_mul_i32 s0, s14, s12
	s_mov_b32 s3, 0x7f800000
	s_mov_b32 s4, 0x43700000
	v_mov_b32_e32 v4, 0xc3700000
.LBB6_26:                               ; =>This Inner Loop Header: Depth=1
	global_load_ushort v5, v[2:3], off
	v_mov_b32_e32 v8, 0
	s_ashr_i32 s1, s0, 31
	s_add_i32 s2, s2, -1
	v_lshl_add_u64 v[2:3], v[2:3], 0, 2
	s_waitcnt vmcnt(0)
	v_lshlrev_b32_e32 v5, 16, v5
	v_div_scale_f32 v6, s[6:7], s26, s26, v5
	v_rcp_f32_e32 v7, v6
	v_div_scale_f32 v9, vcc, v5, s26, v5
	v_fma_f32 v10, -v6, v7, 1.0
	v_fmac_f32_e32 v7, v10, v7
	v_mul_f32_e32 v10, v9, v7
	v_fma_f32 v11, -v6, v10, v9
	v_fmac_f32_e32 v10, v11, v7
	v_fma_f32 v6, -v6, v10, v9
	v_div_fmas_f32 v6, v6, v7, v10
	v_div_fixup_f32 v5, v6, s26, v5
	v_med3_f32 v6, v5, s4, v4
	v_cmp_nlg_f32_e64 vcc, |v5|, s3
	s_nop 1
	v_cndmask_b32_e32 v5, v6, v5, vcc
	v_cvt_pk_fp8_f32 v8, v5, v5
	v_lshl_add_u64 v[6:7], v[0:1], 0, s[0:1]
	s_add_i32 s0, s0, s12
	s_cmp_lg_u32 s2, 0
	global_store_byte v[6:7], v8, off
	s_cbranch_scc1 .LBB6_26
.LBB6_27:
	s_endpgm
.LBB6_28:
                                        ; implicit-def: $sgpr18_sgpr19
	s_branch .LBB6_4
	.section	.rodata,"a",@progbits
	.p2align	6, 0x0
	.amdhsa_kernel _ZN4vllm24reshape_and_cache_kernelI14__hip_bfloat16hLNS_18Fp8KVCacheDataTypeE1EEEvPKT_S5_PT0_S7_PKliiiiiiPKfSB_
		.amdhsa_group_segment_fixed_size 0
		.amdhsa_private_segment_fixed_size 0
		.amdhsa_kernarg_size 80
		.amdhsa_user_sgpr_count 2
		.amdhsa_user_sgpr_dispatch_ptr 0
		.amdhsa_user_sgpr_queue_ptr 0
		.amdhsa_user_sgpr_kernarg_segment_ptr 1
		.amdhsa_user_sgpr_dispatch_id 0
		.amdhsa_user_sgpr_kernarg_preload_length 0
		.amdhsa_user_sgpr_kernarg_preload_offset 0
		.amdhsa_user_sgpr_private_segment_size 0
		.amdhsa_uses_dynamic_stack 0
		.amdhsa_enable_private_segment 0
		.amdhsa_system_sgpr_workgroup_id_x 1
		.amdhsa_system_sgpr_workgroup_id_y 0
		.amdhsa_system_sgpr_workgroup_id_z 0
		.amdhsa_system_sgpr_workgroup_info 0
		.amdhsa_system_vgpr_workitem_id 0
		.amdhsa_next_free_vgpr 45
		.amdhsa_next_free_sgpr 36
		.amdhsa_accum_offset 48
		.amdhsa_reserve_vcc 1
		.amdhsa_float_round_mode_32 0
		.amdhsa_float_round_mode_16_64 0
		.amdhsa_float_denorm_mode_32 3
		.amdhsa_float_denorm_mode_16_64 3
		.amdhsa_dx10_clamp 1
		.amdhsa_ieee_mode 1
		.amdhsa_fp16_overflow 0
		.amdhsa_tg_split 0
		.amdhsa_exception_fp_ieee_invalid_op 0
		.amdhsa_exception_fp_denorm_src 0
		.amdhsa_exception_fp_ieee_div_zero 0
		.amdhsa_exception_fp_ieee_overflow 0
		.amdhsa_exception_fp_ieee_underflow 0
		.amdhsa_exception_fp_ieee_inexact 0
		.amdhsa_exception_int_div_zero 0
	.end_amdhsa_kernel
	.section	.text._ZN4vllm24reshape_and_cache_kernelI14__hip_bfloat16hLNS_18Fp8KVCacheDataTypeE1EEEvPKT_S5_PT0_S7_PKliiiiiiPKfSB_,"axG",@progbits,_ZN4vllm24reshape_and_cache_kernelI14__hip_bfloat16hLNS_18Fp8KVCacheDataTypeE1EEEvPKT_S5_PT0_S7_PKliiiiiiPKfSB_,comdat
.Lfunc_end6:
	.size	_ZN4vllm24reshape_and_cache_kernelI14__hip_bfloat16hLNS_18Fp8KVCacheDataTypeE1EEEvPKT_S5_PT0_S7_PKliiiiiiPKfSB_, .Lfunc_end6-_ZN4vllm24reshape_and_cache_kernelI14__hip_bfloat16hLNS_18Fp8KVCacheDataTypeE1EEEvPKT_S5_PT0_S7_PKliiiiiiPKfSB_
                                        ; -- End function
	.section	.AMDGPU.csdata,"",@progbits
; Kernel info:
; codeLenInByte = 5580
; NumSgprs: 42
; NumVgprs: 45
; NumAgprs: 0
; TotalNumVgprs: 45
; ScratchSize: 0
; MemoryBound: 0
; FloatMode: 240
; IeeeMode: 1
; LDSByteSize: 0 bytes/workgroup (compile time only)
; SGPRBlocks: 5
; VGPRBlocks: 5
; NumSGPRsForWavesPerEU: 42
; NumVGPRsForWavesPerEU: 45
; AccumOffset: 48
; Occupancy: 8
; WaveLimiterHint : 0
; COMPUTE_PGM_RSRC2:SCRATCH_EN: 0
; COMPUTE_PGM_RSRC2:USER_SGPR: 2
; COMPUTE_PGM_RSRC2:TRAP_HANDLER: 0
; COMPUTE_PGM_RSRC2:TGID_X_EN: 1
; COMPUTE_PGM_RSRC2:TGID_Y_EN: 0
; COMPUTE_PGM_RSRC2:TGID_Z_EN: 0
; COMPUTE_PGM_RSRC2:TIDIG_COMP_CNT: 0
; COMPUTE_PGM_RSRC3_GFX90A:ACCUM_OFFSET: 11
; COMPUTE_PGM_RSRC3_GFX90A:TG_SPLIT: 0
	.section	.text._ZN4vllm30reshape_and_cache_flash_kernelIffLNS_18Fp8KVCacheDataTypeE0EEEvPKT_S4_PT0_S6_PKlllllliiiPKfSA_i,"axG",@progbits,_ZN4vllm30reshape_and_cache_flash_kernelIffLNS_18Fp8KVCacheDataTypeE0EEEvPKT_S4_PT0_S6_PKlllllliiiPKfSA_i,comdat
	.protected	_ZN4vllm30reshape_and_cache_flash_kernelIffLNS_18Fp8KVCacheDataTypeE0EEEvPKT_S4_PT0_S6_PKlllllliiiPKfSA_i ; -- Begin function _ZN4vllm30reshape_and_cache_flash_kernelIffLNS_18Fp8KVCacheDataTypeE0EEEvPKT_S4_PT0_S6_PKlllllliiiPKfSA_i
	.globl	_ZN4vllm30reshape_and_cache_flash_kernelIffLNS_18Fp8KVCacheDataTypeE0EEEvPKT_S4_PT0_S6_PKlllllliiiPKfSA_i
	.p2align	8
	.type	_ZN4vllm30reshape_and_cache_flash_kernelIffLNS_18Fp8KVCacheDataTypeE0EEEvPKT_S4_PT0_S6_PKlllllliiiPKfSA_i,@function
_ZN4vllm30reshape_and_cache_flash_kernelIffLNS_18Fp8KVCacheDataTypeE0EEEvPKT_S4_PT0_S6_PKlllllliiiPKfSA_i: ; @_ZN4vllm30reshape_and_cache_flash_kernelIffLNS_18Fp8KVCacheDataTypeE0EEEvPKT_S4_PT0_S6_PKlllllliiiPKfSA_i
; %bb.0:
	s_load_dwordx2 s[4:5], s[0:1], 0x20
	s_mov_b32 s3, 0
	s_lshl_b64 s[6:7], s[2:3], 3
	s_waitcnt lgkmcnt(0)
	s_add_u32 s4, s4, s6
	s_addc_u32 s5, s5, s7
	s_load_dwordx2 s[24:25], s[4:5], 0x0
	s_waitcnt lgkmcnt(0)
	v_cmp_lt_i64_e64 s[4:5], s[24:25], 0
	s_and_b64 vcc, exec, s[4:5]
	s_cbranch_vccnz .LBB7_139
; %bb.1:
	s_load_dwordx4 s[20:23], s[0:1], 0x50
	s_load_dwordx8 s[12:19], s[0:1], 0x0
	s_waitcnt lgkmcnt(0)
	s_ashr_i32 s23, s22, 31
	s_or_b64 s[4:5], s[24:25], s[22:23]
	s_mov_b32 s4, s3
	s_cmp_lg_u64 s[4:5], 0
	s_cbranch_scc0 .LBB7_140
; %bb.2:
	s_add_u32 s4, s22, s23
	s_mov_b32 s8, s23
	s_mov_b32 s9, s23
	s_addc_u32 s5, s23, s23
	s_xor_b64 s[10:11], s[4:5], s[8:9]
	v_cvt_f32_u32_e32 v1, s10
	v_cvt_f32_u32_e32 v2, s11
	s_sub_u32 s3, 0, s10
	s_subb_u32 s4, 0, s11
	v_fmamk_f32 v1, v2, 0x4f800000, v1
	v_rcp_f32_e32 v1, v1
	s_nop 0
	v_mul_f32_e32 v1, 0x5f7ffffc, v1
	v_mul_f32_e32 v2, 0x2f800000, v1
	v_trunc_f32_e32 v2, v2
	v_fmamk_f32 v1, v2, 0xcf800000, v1
	v_cvt_u32_f32_e32 v2, v2
	v_cvt_u32_f32_e32 v1, v1
	v_readfirstlane_b32 s5, v2
	v_readfirstlane_b32 s26, v1
	s_mul_i32 s27, s3, s5
	s_mul_hi_u32 s29, s3, s26
	s_mul_i32 s28, s4, s26
	s_add_i32 s27, s29, s27
	s_add_i32 s27, s27, s28
	s_mul_i32 s30, s3, s26
	s_mul_hi_u32 s28, s26, s27
	s_mul_i32 s29, s26, s27
	s_mul_hi_u32 s26, s26, s30
	s_add_u32 s26, s26, s29
	s_addc_u32 s28, 0, s28
	s_mul_hi_u32 s31, s5, s30
	s_mul_i32 s30, s5, s30
	s_add_u32 s26, s26, s30
	s_mul_hi_u32 s29, s5, s27
	s_addc_u32 s26, s28, s31
	s_addc_u32 s28, s29, 0
	s_mul_i32 s27, s5, s27
	s_add_u32 s26, s26, s27
	s_addc_u32 s27, 0, s28
	v_add_co_u32_e32 v1, vcc, s26, v1
	s_cmp_lg_u64 vcc, 0
	s_addc_u32 s5, s5, s27
	v_readfirstlane_b32 s27, v1
	s_mul_i32 s26, s3, s5
	s_mul_hi_u32 s28, s3, s27
	s_add_i32 s26, s28, s26
	s_mul_i32 s4, s4, s27
	s_add_i32 s26, s26, s4
	s_mul_i32 s3, s3, s27
	s_mul_hi_u32 s28, s5, s3
	s_mul_i32 s29, s5, s3
	s_mul_i32 s31, s27, s26
	s_mul_hi_u32 s3, s27, s3
	s_mul_hi_u32 s30, s27, s26
	s_add_u32 s3, s3, s31
	s_addc_u32 s27, 0, s30
	s_add_u32 s3, s3, s29
	s_mul_hi_u32 s4, s5, s26
	s_addc_u32 s3, s27, s28
	s_addc_u32 s4, s4, 0
	s_mul_i32 s26, s5, s26
	s_add_u32 s3, s3, s26
	s_addc_u32 s4, 0, s4
	v_add_co_u32_e32 v1, vcc, s3, v1
	s_cmp_lg_u64 vcc, 0
	s_addc_u32 s3, s5, s4
	s_ashr_i32 s26, s25, 31
	s_add_u32 s4, s24, s26
	s_mov_b32 s27, s26
	s_addc_u32 s5, s25, s26
	s_xor_b64 s[28:29], s[4:5], s[26:27]
	v_readfirstlane_b32 s30, v1
	s_mul_i32 s5, s28, s3
	s_mul_hi_u32 s31, s28, s30
	s_mul_hi_u32 s4, s28, s3
	s_add_u32 s5, s31, s5
	s_addc_u32 s4, 0, s4
	s_mul_hi_u32 s33, s29, s30
	s_mul_i32 s30, s29, s30
	s_add_u32 s5, s5, s30
	s_mul_hi_u32 s31, s29, s3
	s_addc_u32 s4, s4, s33
	s_addc_u32 s5, s31, 0
	s_mul_i32 s3, s29, s3
	s_add_u32 s3, s4, s3
	s_addc_u32 s30, 0, s5
	s_mul_i32 s4, s10, s30
	s_mul_hi_u32 s5, s10, s3
	s_add_i32 s4, s5, s4
	s_mul_i32 s5, s11, s3
	s_add_i32 s31, s4, s5
	s_mul_i32 s5, s10, s3
	v_mov_b32_e32 v1, s5
	s_sub_i32 s4, s29, s31
	v_sub_co_u32_e32 v1, vcc, s28, v1
	s_cmp_lg_u64 vcc, 0
	s_subb_u32 s28, s4, s11
	v_subrev_co_u32_e64 v2, s[4:5], s10, v1
	s_cmp_lg_u64 s[4:5], 0
	s_subb_u32 s4, s28, 0
	s_cmp_ge_u32 s4, s11
	v_readfirstlane_b32 s28, v2
	s_cselect_b32 s5, -1, 0
	s_cmp_ge_u32 s28, s10
	s_cselect_b32 s28, -1, 0
	s_cmp_eq_u32 s4, s11
	s_cselect_b32 s4, s28, s5
	s_add_u32 s5, s3, 1
	s_addc_u32 s28, s30, 0
	s_add_u32 s33, s3, 2
	s_addc_u32 s34, s30, 0
	s_cmp_lg_u32 s4, 0
	s_cselect_b32 s4, s33, s5
	s_cselect_b32 s5, s34, s28
	s_cmp_lg_u64 vcc, 0
	s_subb_u32 s28, s29, s31
	s_cmp_ge_u32 s28, s11
	v_readfirstlane_b32 s31, v1
	s_cselect_b32 s29, -1, 0
	s_cmp_ge_u32 s31, s10
	s_cselect_b32 s10, -1, 0
	s_cmp_eq_u32 s28, s11
	s_cselect_b32 s10, s10, s29
	s_cmp_lg_u32 s10, 0
	s_cselect_b32 s5, s5, s30
	s_cselect_b32 s4, s4, s3
	s_xor_b64 s[8:9], s[26:27], s[8:9]
	s_xor_b64 s[4:5], s[4:5], s[8:9]
	s_sub_u32 s26, s4, s8
	s_subb_u32 s27, s5, s9
	s_cbranch_execnz .LBB7_4
.LBB7_3:
	v_cvt_f32_u32_e32 v1, s22
	s_sub_i32 s3, 0, s22
	s_mov_b32 s27, 0
	v_rcp_iflag_f32_e32 v1, v1
	s_nop 0
	v_mul_f32_e32 v1, 0x4f7ffffe, v1
	v_cvt_u32_f32_e32 v1, v1
	s_nop 0
	v_readfirstlane_b32 s4, v1
	s_mul_i32 s3, s3, s4
	s_mul_hi_u32 s3, s4, s3
	s_add_i32 s4, s4, s3
	s_mul_hi_u32 s3, s24, s4
	s_mul_i32 s5, s3, s22
	s_sub_i32 s5, s24, s5
	s_add_i32 s4, s3, 1
	s_sub_i32 s6, s5, s22
	s_cmp_ge_u32 s5, s22
	s_cselect_b32 s3, s4, s3
	s_cselect_b32 s5, s6, s5
	s_add_i32 s4, s3, 1
	s_cmp_ge_u32 s5, s22
	s_cselect_b32 s26, s4, s3
.LBB7_4:
	s_load_dwordx8 s[4:11], s[0:1], 0x28
	s_mul_i32 s3, s26, s23
	s_mul_hi_u32 s23, s26, s22
	s_add_i32 s3, s23, s3
	s_mul_i32 s23, s27, s22
	s_add_i32 s3, s3, s23
	s_mul_i32 s22, s26, s22
	s_sub_u32 s24, s24, s22
	s_waitcnt lgkmcnt(0)
	s_mul_i32 s11, s2, s11
	s_mul_hi_u32 s22, s2, s10
	s_subb_u32 s3, s25, s3
	s_add_i32 s11, s22, s11
	s_mul_i32 s10, s2, s10
	s_lshl_b64 s[30:31], s[10:11], 2
	s_load_dwordx2 s[10:11], s[0:1], 0x48
	s_add_u32 s22, s12, s30
	s_load_dword s33, s[0:1], 0x70
	s_load_dword s36, s[0:1], 0x84
	s_addc_u32 s23, s13, s31
	s_mul_i32 s3, s3, s6
	s_waitcnt lgkmcnt(0)
	s_mul_i32 s0, s2, s11
	s_mul_hi_u32 s1, s2, s10
	s_add_i32 s1, s1, s0
	s_mul_i32 s0, s2, s10
	s_lshl_b64 s[34:35], s[0:1], 2
	s_add_u32 s10, s14, s34
	s_mul_i32 s0, s26, s5
	s_mul_hi_u32 s1, s26, s4
	s_addc_u32 s11, s15, s35
	s_add_i32 s0, s1, s0
	s_mul_i32 s1, s27, s4
	s_add_i32 s1, s0, s1
	s_mul_i32 s0, s26, s4
	s_lshl_b64 s[4:5], s[0:1], 2
	s_add_u32 s2, s16, s4
	s_mul_i32 s0, s24, s7
	s_mul_hi_u32 s1, s24, s6
	s_addc_u32 s25, s17, s5
	s_add_i32 s0, s1, s0
	s_add_i32 s1, s0, s3
	s_mul_i32 s0, s24, s6
	s_lshl_b64 s[28:29], s[0:1], 2
	s_add_u32 s24, s2, s28
	s_addc_u32 s25, s25, s29
	s_add_u32 s0, s18, s4
	s_addc_u32 s1, s19, s5
	;; [unrolled: 2-line block ×3, first 2 shown]
	s_ashr_i32 s1, s21, 31
	s_mov_b32 s0, s21
	s_cmp_lg_u64 s[0:1], s[8:9]
	s_cselect_b64 s[0:1], -1, 0
	s_cmp_lg_u32 s33, 0
	s_cselect_b64 s[2:3], -1, 0
	s_or_b64 s[2:3], s[0:1], s[2:3]
	s_and_b32 s33, s36, 0xffff
	s_mov_b64 s[0:1], -1
	s_and_b64 vcc, exec, s[2:3]
	s_cbranch_vccz .LBB7_77
; %bb.5:
	v_lshrrev_b32_e32 v1, 5, v0
	v_cmp_gt_i32_e32 vcc, s20, v1
	s_and_saveexec_b64 s[26:27], vcc
	s_cbranch_execz .LBB7_76
; %bb.6:
	s_lshr_b32 s48, s33, 5
	s_and_b32 s0, s21, 3
	v_and_b32_e32 v2, 31, v0
	s_cmp_eq_u32 s0, 0
	s_cselect_b64 s[36:37], -1, 0
	s_ashr_i32 s49, s21, 2
	v_not_b32_e32 v38, v2
	v_add_u32_e32 v4, s49, v38
	v_mad_u64_u32 v[10:11], s[38:39], s8, v1, 0
	v_mov_b32_e32 v5, 0
	v_lshrrev_b32_e32 v6, 5, v4
	v_cmp_lt_u32_e64 s[0:1], 31, v4
	v_mov_b32_e32 v4, v11
	v_mad_u64_u32 v[12:13], s[38:39], s9, v1, v[4:5]
	s_add_u32 s4, s28, s4
	v_mov_b32_e32 v11, v12
	s_addc_u32 s5, s29, s5
	v_lshl_add_u64 v[18:19], v[10:11], 2, s[4:5]
	s_mul_i32 s4, s9, s48
	s_mul_hi_u32 s5, s8, s48
	s_add_i32 s5, s5, s4
	s_mul_i32 s4, s8, s48
	s_lshl_b64 s[28:29], s[4:5], 2
	s_add_u32 s12, s12, s30
	s_addc_u32 s13, s13, s31
	s_add_u32 s30, s12, 8
	s_addc_u32 s31, s13, 0
	s_add_u32 s14, s14, s34
	v_add_u32_e32 v9, 1, v6
	v_lshl_add_u64 v[16:17], v[18:19], 0, 8
	s_addc_u32 s15, s15, s35
	v_and_b32_e32 v39, 0xffffffe, v9
	v_lshl_add_u64 v[10:11], s[16:17], 0, v[16:17]
	v_lshl_add_u64 v[14:15], s[16:17], 0, v[18:19]
	s_add_u32 s16, s14, 8
	v_cmp_gt_i32_e32 vcc, s49, v2
	v_mov_b32_e32 v3, v5
	v_or_b32_e32 v7, 32, v2
	v_mov_b32_e32 v6, v2
	v_lshl_or_b32 v8, v39, 5, v2
	v_cmp_ne_u32_e64 s[2:3], v9, v39
	v_mul_lo_u32 v12, s21, v1
	s_mul_i32 s50, s21, s48
	v_lshl_add_u64 v[16:17], s[18:19], 0, v[16:17]
	s_addc_u32 s17, s15, 0
	v_lshl_add_u64 v[18:19], s[18:19], 0, v[18:19]
	s_mov_b64 s[18:19], 0
	s_xor_b64 s[34:35], s[36:37], -1
	s_mov_b64 s[36:37], 0x200
	s_mov_b64 s[38:39], 0x80
	v_lshlrev_b32_e32 v20, 2, v2
	s_branch .LBB7_9
.LBB7_7:                                ;   in Loop: Header=BB7_9 Depth=1
	s_or_b64 exec, exec, s[42:43]
.LBB7_8:                                ;   in Loop: Header=BB7_9 Depth=1
	s_or_b64 exec, exec, s[40:41]
	v_add_u32_e32 v1, s48, v1
	v_cmp_le_i32_e64 s[4:5], s20, v1
	v_lshl_add_u64 v[10:11], v[10:11], 0, s[28:29]
	v_add_u32_e32 v12, s50, v12
	v_lshl_add_u64 v[14:15], v[14:15], 0, s[28:29]
	v_lshl_add_u64 v[16:17], v[16:17], 0, s[28:29]
	s_or_b64 s[18:19], s[4:5], s[18:19]
	v_lshl_add_u64 v[18:19], v[18:19], 0, s[28:29]
	s_andn2_b64 exec, exec, s[18:19]
	s_cbranch_execz .LBB7_76
.LBB7_9:                                ; =>This Loop Header: Depth=1
                                        ;     Child Loop BB7_15 Depth 2
                                        ;     Child Loop BB7_21 Depth 2
	;; [unrolled: 1-line block ×12, first 2 shown]
	v_mul_lo_u32 v24, v1, s21
	v_ashrrev_i32_e32 v25, 31, v24
	v_mad_u64_u32 v[26:27], s[4:5], v1, s8, 0
	v_lshl_add_u64 v[30:31], v[24:25], 2, s[22:23]
	v_mov_b32_e32 v4, v27
	v_mad_u64_u32 v[28:29], s[4:5], v1, s9, v[4:5]
	v_and_b32_e32 v4, 15, v30
	v_ashrrev_i32_e32 v13, 31, v12
	v_mov_b32_e32 v27, v28
	v_cmp_ne_u64_e64 s[4:5], 0, v[4:5]
	v_lshlrev_b64 v[22:23], 2, v[12:13]
	v_lshl_add_u64 v[32:33], v[26:27], 2, s[24:25]
	s_or_b64 s[4:5], s[34:35], s[4:5]
	s_and_saveexec_b64 s[40:41], s[4:5]
	s_xor_b64 s[40:41], exec, s[40:41]
	s_cbranch_execz .LBB7_31
; %bb.10:                               ;   in Loop: Header=BB7_9 Depth=1
	v_sub_u32_e32 v4, 0, v30
	v_bfe_u32 v4, v4, 2, 2
	v_min_i32_e32 v28, s21, v4
	v_cmp_gt_i32_e64 s[4:5], v28, v2
	s_and_saveexec_b64 s[42:43], s[4:5]
	s_cbranch_execz .LBB7_12
; %bb.11:                               ;   in Loop: Header=BB7_9 Depth=1
	v_mov_b32_e32 v21, v5
	v_lshl_add_u64 v[34:35], v[30:31], 0, v[20:21]
	global_load_dword v4, v[34:35], off
	v_lshl_add_u64 v[34:35], v[32:33], 0, v[20:21]
	s_waitcnt vmcnt(0)
	global_store_dword v[34:35], v4, off
.LBB7_12:                               ;   in Loop: Header=BB7_9 Depth=1
	s_or_b64 exec, exec, s[42:43]
	v_sub_u32_e32 v9, s21, v28
	v_ashrrev_i32_e32 v4, 31, v9
	v_lshrrev_b32_e32 v4, 30, v4
	v_ashrrev_i32_e32 v29, 31, v28
	v_add_u32_e32 v4, v9, v4
	v_lshlrev_b64 v[34:35], 2, v[28:29]
	v_ashrrev_i32_e32 v13, 2, v4
	v_lshl_add_u64 v[30:31], v[30:31], 0, v[34:35]
	v_lshl_add_u64 v[32:33], v[32:33], 0, v[34:35]
	v_cmp_gt_i32_e64 s[4:5], v13, v2
	s_and_saveexec_b64 s[42:43], s[4:5]
	s_cbranch_execz .LBB7_22
; %bb.13:                               ;   in Loop: Header=BB7_9 Depth=1
	v_add_u32_e32 v21, v13, v38
	v_cmp_lt_u32_e64 s[4:5], 31, v21
	s_mov_b64 s[46:47], -1
	v_mov_b32_e32 v4, v2
	v_mov_b64_e32 v[36:37], v[2:3]
	s_and_saveexec_b64 s[44:45], s[4:5]
	s_cbranch_execz .LBB7_19
; %bb.14:                               ;   in Loop: Header=BB7_9 Depth=1
	v_lshrrev_b32_e32 v4, 5, v21
	v_add_u32_e32 v40, 1, v4
	v_and_b32_e32 v21, 0xffffffe, v40
	s_mov_b64 s[46:47], 0
	v_mov_b32_e32 v41, v21
	v_mov_b64_e32 v[36:37], v[6:7]
.LBB7_15:                               ;   Parent Loop BB7_9 Depth=1
                                        ; =>  This Inner Loop Header: Depth=2
	v_mov_b32_e32 v4, v36
	v_lshlrev_b64 v[50:51], 4, v[4:5]
	v_mov_b32_e32 v4, v37
	v_lshlrev_b64 v[52:53], 4, v[4:5]
	v_lshl_add_u64 v[42:43], v[30:31], 0, v[50:51]
	v_lshl_add_u64 v[46:47], v[30:31], 0, v[52:53]
	global_load_dwordx4 v[42:45], v[42:43], off
	s_nop 0
	global_load_dwordx4 v[46:49], v[46:47], off
	v_add_u32_e32 v41, -2, v41
	v_cmp_eq_u32_e64 s[4:5], 0, v41
	v_add_u32_e32 v36, 64, v36
	v_add_u32_e32 v37, 64, v37
	v_lshl_add_u64 v[50:51], v[32:33], 0, v[50:51]
	s_or_b64 s[46:47], s[4:5], s[46:47]
	v_lshl_add_u64 v[52:53], v[32:33], 0, v[52:53]
	s_waitcnt vmcnt(1)
	global_store_dwordx4 v[50:51], v[42:45], off
	s_waitcnt vmcnt(1)
	global_store_dwordx4 v[52:53], v[46:49], off
	s_andn2_b64 exec, exec, s[46:47]
	s_cbranch_execnz .LBB7_15
; %bb.16:                               ;   in Loop: Header=BB7_9 Depth=1
	s_or_b64 exec, exec, s[46:47]
	v_cmp_ne_u32_e64 s[4:5], v40, v21
	s_mov_b64 s[46:47], 0
                                        ; implicit-def: $vgpr36_vgpr37
	s_and_saveexec_b64 s[52:53], s[4:5]
	s_xor_b64 s[4:5], exec, s[52:53]
; %bb.17:                               ;   in Loop: Header=BB7_9 Depth=1
	v_lshl_or_b32 v4, v21, 5, v2
	s_mov_b64 s[46:47], exec
	v_mov_b64_e32 v[36:37], v[4:5]
; %bb.18:                               ;   in Loop: Header=BB7_9 Depth=1
	s_or_b64 exec, exec, s[4:5]
	s_orn2_b64 s[46:47], s[46:47], exec
.LBB7_19:                               ;   in Loop: Header=BB7_9 Depth=1
	s_or_b64 exec, exec, s[44:45]
	s_and_b64 exec, exec, s[46:47]
	s_cbranch_execz .LBB7_22
; %bb.20:                               ;   in Loop: Header=BB7_9 Depth=1
	v_lshl_add_u64 v[36:37], v[36:37], 4, v[34:35]
	v_lshl_add_u64 v[34:35], v[10:11], 0, v[36:37]
	;; [unrolled: 1-line block ×4, first 2 shown]
	s_mov_b64 s[44:45], 0
.LBB7_21:                               ;   Parent Loop BB7_9 Depth=1
                                        ; =>  This Inner Loop Header: Depth=2
	global_load_dwordx4 v[40:43], v[36:37], off offset:-8
	v_add_u32_e32 v4, 32, v4
	v_cmp_ge_i32_e64 s[4:5], v4, v13
	v_lshl_add_u64 v[36:37], v[36:37], 0, s[36:37]
	s_or_b64 s[44:45], s[4:5], s[44:45]
	s_waitcnt vmcnt(0)
	global_store_dwordx4 v[34:35], v[40:43], off offset:-8
	v_lshl_add_u64 v[34:35], v[34:35], 0, s[36:37]
	s_andn2_b64 exec, exec, s[44:45]
	s_cbranch_execnz .LBB7_21
.LBB7_22:                               ;   in Loop: Header=BB7_9 Depth=1
	s_or_b64 exec, exec, s[42:43]
	v_lshlrev_b32_e32 v4, 2, v13
	v_add_u32_e32 v34, v4, v2
	v_cmp_lt_i32_e64 s[4:5], v34, v9
	s_and_saveexec_b64 s[42:43], s[4:5]
	s_cbranch_execz .LBB7_30
; %bb.23:                               ;   in Loop: Header=BB7_9 Depth=1
	v_add_u32_e32 v13, v7, v4
	v_max_i32_e32 v13, v13, v9
	v_add_u32_e32 v13, v13, v38
	v_sub_u32_e32 v4, v13, v4
	v_cmp_lt_u32_e64 s[4:5], 31, v4
	s_mov_b64 s[46:47], -1
	s_and_saveexec_b64 s[44:45], s[4:5]
	s_cbranch_execz .LBB7_27
; %bb.24:                               ;   in Loop: Header=BB7_9 Depth=1
	v_lshrrev_b32_e32 v4, 5, v4
	v_add_u32_e32 v4, 1, v4
	v_and_b32_e32 v13, 0xffffffe, v4
	v_add_u32_e32 v35, 32, v34
	s_mov_b64 s[46:47], 0
	v_mov_b32_e32 v21, v13
	v_mov_b64_e32 v[36:37], v[34:35]
.LBB7_25:                               ;   Parent Loop BB7_9 Depth=1
                                        ; =>  This Inner Loop Header: Depth=2
	v_ashrrev_i32_e32 v43, 31, v36
	v_mov_b32_e32 v42, v36
	v_ashrrev_i32_e32 v41, 31, v37
	v_mov_b32_e32 v40, v37
	v_lshlrev_b64 v[42:43], 2, v[42:43]
	v_lshlrev_b64 v[40:41], 2, v[40:41]
	v_lshl_add_u64 v[44:45], v[30:31], 0, v[42:43]
	v_lshl_add_u64 v[46:47], v[30:31], 0, v[40:41]
	global_load_dword v35, v[44:45], off
	s_nop 0
	global_load_dword v44, v[46:47], off
	v_add_u32_e32 v21, -2, v21
	v_cmp_eq_u32_e64 s[4:5], 0, v21
	v_add_u32_e32 v37, 64, v37
	v_add_u32_e32 v36, 64, v36
	v_lshl_add_u64 v[42:43], v[32:33], 0, v[42:43]
	s_or_b64 s[46:47], s[4:5], s[46:47]
	v_lshl_add_u64 v[40:41], v[32:33], 0, v[40:41]
	s_waitcnt vmcnt(1)
	global_store_dword v[42:43], v35, off
	s_waitcnt vmcnt(1)
	global_store_dword v[40:41], v44, off
	s_andn2_b64 exec, exec, s[46:47]
	s_cbranch_execnz .LBB7_25
; %bb.26:                               ;   in Loop: Header=BB7_9 Depth=1
	s_or_b64 exec, exec, s[46:47]
	v_cmp_ne_u32_e64 s[4:5], v4, v13
	v_lshl_add_u32 v34, v13, 5, v34
	s_orn2_b64 s[46:47], s[4:5], exec
.LBB7_27:                               ;   in Loop: Header=BB7_9 Depth=1
	s_or_b64 exec, exec, s[44:45]
	s_and_b64 exec, exec, s[46:47]
	s_cbranch_execz .LBB7_30
; %bb.28:                               ;   in Loop: Header=BB7_9 Depth=1
	v_ashrrev_i32_e32 v35, 31, v34
	v_lshlrev_b64 v[30:31], 2, v[34:35]
	v_lshl_add_u64 v[30:31], v[28:29], 2, v[30:31]
	v_lshl_add_u64 v[28:29], v[30:31], 0, v[22:23]
	;; [unrolled: 1-line block ×4, first 2 shown]
	s_mov_b64 s[44:45], 0
.LBB7_29:                               ;   Parent Loop BB7_9 Depth=1
                                        ; =>  This Inner Loop Header: Depth=2
	global_load_dword v4, v[28:29], off
	v_add_u32_e32 v34, 32, v34
	v_cmp_ge_i32_e64 s[4:5], v34, v9
	v_lshl_add_u64 v[28:29], v[28:29], 0, s[38:39]
	s_or_b64 s[44:45], s[4:5], s[44:45]
	s_waitcnt vmcnt(0)
	global_store_dword v[30:31], v4, off
	v_lshl_add_u64 v[30:31], v[30:31], 0, s[38:39]
	s_andn2_b64 exec, exec, s[44:45]
	s_cbranch_execnz .LBB7_29
.LBB7_30:                               ;   in Loop: Header=BB7_9 Depth=1
	s_or_b64 exec, exec, s[42:43]
                                        ; implicit-def: $vgpr30_vgpr31
                                        ; implicit-def: $vgpr32_vgpr33
.LBB7_31:                               ;   in Loop: Header=BB7_9 Depth=1
	s_andn2_saveexec_b64 s[40:41], s[40:41]
	s_cbranch_execz .LBB7_43
; %bb.32:                               ;   in Loop: Header=BB7_9 Depth=1
	s_and_saveexec_b64 s[42:43], vcc
	s_cbranch_execz .LBB7_42
; %bb.33:                               ;   in Loop: Header=BB7_9 Depth=1
	s_mov_b64 s[4:5], -1
	v_mov_b32_e32 v4, v2
	v_mov_b64_e32 v[28:29], v[2:3]
	s_and_saveexec_b64 s[44:45], s[0:1]
	s_cbranch_execz .LBB7_39
; %bb.34:                               ;   in Loop: Header=BB7_9 Depth=1
	s_mov_b64 s[46:47], 0
	v_mov_b32_e32 v9, v39
	v_mov_b64_e32 v[28:29], v[6:7]
.LBB7_35:                               ;   Parent Loop BB7_9 Depth=1
                                        ; =>  This Inner Loop Header: Depth=2
	v_mov_b32_e32 v4, v28
	v_lshlrev_b64 v[44:45], 4, v[4:5]
	v_mov_b32_e32 v4, v29
	v_lshlrev_b64 v[46:47], 4, v[4:5]
	v_lshl_add_u64 v[34:35], v[30:31], 0, v[44:45]
	v_lshl_add_u64 v[40:41], v[30:31], 0, v[46:47]
	global_load_dwordx4 v[34:37], v[34:35], off
	s_nop 0
	global_load_dwordx4 v[40:43], v[40:41], off
	v_add_u32_e32 v9, -2, v9
	v_cmp_eq_u32_e64 s[4:5], 0, v9
	v_add_u32_e32 v28, 64, v28
	v_add_u32_e32 v29, 64, v29
	v_lshl_add_u64 v[44:45], v[32:33], 0, v[44:45]
	s_or_b64 s[46:47], s[4:5], s[46:47]
	v_lshl_add_u64 v[46:47], v[32:33], 0, v[46:47]
	s_waitcnt vmcnt(1)
	global_store_dwordx4 v[44:45], v[34:37], off
	s_waitcnt vmcnt(1)
	global_store_dwordx4 v[46:47], v[40:43], off
	s_andn2_b64 exec, exec, s[46:47]
	s_cbranch_execnz .LBB7_35
; %bb.36:                               ;   in Loop: Header=BB7_9 Depth=1
	s_or_b64 exec, exec, s[46:47]
	s_mov_b64 s[4:5], 0
                                        ; implicit-def: $vgpr28_vgpr29
	s_and_saveexec_b64 s[46:47], s[2:3]
; %bb.37:                               ;   in Loop: Header=BB7_9 Depth=1
	v_mov_b32_e32 v9, v5
	s_mov_b64 s[4:5], exec
	v_mov_b64_e32 v[28:29], v[8:9]
; %bb.38:                               ;   in Loop: Header=BB7_9 Depth=1
	s_or_b64 exec, exec, s[46:47]
	s_orn2_b64 s[4:5], s[4:5], exec
	v_mov_b32_e32 v4, v8
.LBB7_39:                               ;   in Loop: Header=BB7_9 Depth=1
	s_or_b64 exec, exec, s[44:45]
	s_and_b64 exec, exec, s[4:5]
	s_cbranch_execz .LBB7_42
; %bb.40:                               ;   in Loop: Header=BB7_9 Depth=1
	v_lshl_add_u64 v[30:31], s[12:13], 0, v[22:23]
	v_lshlrev_b64 v[28:29], 4, v[28:29]
	s_mov_b64 s[44:45], 0
.LBB7_41:                               ;   Parent Loop BB7_9 Depth=1
                                        ; =>  This Inner Loop Header: Depth=2
	v_lshl_add_u64 v[32:33], v[30:31], 0, v[28:29]
	global_load_dwordx4 v[32:35], v[32:33], off
	v_add_u32_e32 v4, 32, v4
	v_cmp_le_i32_e64 s[4:5], s49, v4
	v_lshl_add_u64 v[36:37], v[10:11], 0, v[28:29]
	v_lshl_add_u64 v[28:29], v[28:29], 0, s[36:37]
	s_or_b64 s[44:45], s[4:5], s[44:45]
	s_waitcnt vmcnt(0)
	global_store_dwordx4 v[36:37], v[32:35], off offset:-8
	s_andn2_b64 exec, exec, s[44:45]
	s_cbranch_execnz .LBB7_41
.LBB7_42:                               ;   in Loop: Header=BB7_9 Depth=1
	s_or_b64 exec, exec, s[42:43]
.LBB7_43:                               ;   in Loop: Header=BB7_9 Depth=1
	s_or_b64 exec, exec, s[40:41]
	v_lshl_add_u64 v[28:29], v[24:25], 2, s[10:11]
	v_and_b32_e32 v4, 15, v28
	v_cmp_ne_u64_e64 s[4:5], 0, v[4:5]
	v_lshl_add_u64 v[32:33], v[26:27], 2, s[6:7]
	s_or_b64 s[4:5], s[34:35], s[4:5]
	s_and_saveexec_b64 s[40:41], s[4:5]
	s_xor_b64 s[40:41], exec, s[40:41]
	s_cbranch_execz .LBB7_65
; %bb.44:                               ;   in Loop: Header=BB7_9 Depth=1
	v_sub_u32_e32 v4, 0, v28
	v_bfe_u32 v4, v4, 2, 2
	v_min_i32_e32 v24, s21, v4
	v_cmp_gt_i32_e64 s[4:5], v24, v2
	s_and_saveexec_b64 s[42:43], s[4:5]
	s_cbranch_execz .LBB7_46
; %bb.45:                               ;   in Loop: Header=BB7_9 Depth=1
	v_mov_b32_e32 v21, v5
	v_lshl_add_u64 v[26:27], v[28:29], 0, v[20:21]
	global_load_dword v4, v[26:27], off
	v_lshl_add_u64 v[26:27], v[32:33], 0, v[20:21]
	s_waitcnt vmcnt(0)
	global_store_dword v[26:27], v4, off
.LBB7_46:                               ;   in Loop: Header=BB7_9 Depth=1
	s_or_b64 exec, exec, s[42:43]
	v_sub_u32_e32 v9, s21, v24
	v_ashrrev_i32_e32 v4, 31, v9
	v_lshrrev_b32_e32 v4, 30, v4
	v_ashrrev_i32_e32 v25, 31, v24
	v_add_u32_e32 v4, v9, v4
	v_lshlrev_b64 v[30:31], 2, v[24:25]
	v_ashrrev_i32_e32 v13, 2, v4
	v_lshl_add_u64 v[26:27], v[28:29], 0, v[30:31]
	v_lshl_add_u64 v[28:29], v[32:33], 0, v[30:31]
	v_cmp_gt_i32_e64 s[4:5], v13, v2
	s_and_saveexec_b64 s[42:43], s[4:5]
	s_cbranch_execz .LBB7_56
; %bb.47:                               ;   in Loop: Header=BB7_9 Depth=1
	v_add_u32_e32 v21, v13, v38
	v_cmp_lt_u32_e64 s[4:5], 31, v21
	s_mov_b64 s[46:47], -1
	v_mov_b32_e32 v4, v2
	v_mov_b64_e32 v[32:33], v[2:3]
	s_and_saveexec_b64 s[44:45], s[4:5]
	s_cbranch_execz .LBB7_53
; %bb.48:                               ;   in Loop: Header=BB7_9 Depth=1
	v_lshrrev_b32_e32 v4, 5, v21
	v_add_u32_e32 v34, 1, v4
	v_and_b32_e32 v21, 0xffffffe, v34
	s_mov_b64 s[46:47], 0
	v_mov_b32_e32 v35, v21
	v_mov_b64_e32 v[32:33], v[6:7]
.LBB7_49:                               ;   Parent Loop BB7_9 Depth=1
                                        ; =>  This Inner Loop Header: Depth=2
	v_mov_b32_e32 v4, v32
	v_lshlrev_b64 v[36:37], 4, v[4:5]
	v_mov_b32_e32 v4, v33
	v_lshlrev_b64 v[48:49], 4, v[4:5]
	v_lshl_add_u64 v[40:41], v[26:27], 0, v[36:37]
	v_lshl_add_u64 v[44:45], v[26:27], 0, v[48:49]
	global_load_dwordx4 v[40:43], v[40:41], off
	s_nop 0
	global_load_dwordx4 v[44:47], v[44:45], off
	v_add_u32_e32 v35, -2, v35
	v_cmp_eq_u32_e64 s[4:5], 0, v35
	v_add_u32_e32 v32, 64, v32
	v_add_u32_e32 v33, 64, v33
	v_lshl_add_u64 v[36:37], v[28:29], 0, v[36:37]
	s_or_b64 s[46:47], s[4:5], s[46:47]
	v_lshl_add_u64 v[48:49], v[28:29], 0, v[48:49]
	s_waitcnt vmcnt(1)
	global_store_dwordx4 v[36:37], v[40:43], off
	s_waitcnt vmcnt(1)
	global_store_dwordx4 v[48:49], v[44:47], off
	s_andn2_b64 exec, exec, s[46:47]
	s_cbranch_execnz .LBB7_49
; %bb.50:                               ;   in Loop: Header=BB7_9 Depth=1
	s_or_b64 exec, exec, s[46:47]
	v_cmp_ne_u32_e64 s[4:5], v34, v21
	s_mov_b64 s[46:47], 0
                                        ; implicit-def: $vgpr32_vgpr33
	s_and_saveexec_b64 s[52:53], s[4:5]
	s_xor_b64 s[4:5], exec, s[52:53]
; %bb.51:                               ;   in Loop: Header=BB7_9 Depth=1
	v_lshl_or_b32 v4, v21, 5, v2
	s_mov_b64 s[46:47], exec
	v_mov_b64_e32 v[32:33], v[4:5]
; %bb.52:                               ;   in Loop: Header=BB7_9 Depth=1
	s_or_b64 exec, exec, s[4:5]
	s_orn2_b64 s[46:47], s[46:47], exec
.LBB7_53:                               ;   in Loop: Header=BB7_9 Depth=1
	s_or_b64 exec, exec, s[44:45]
	s_and_b64 exec, exec, s[46:47]
	s_cbranch_execz .LBB7_56
; %bb.54:                               ;   in Loop: Header=BB7_9 Depth=1
	v_lshl_add_u64 v[32:33], v[32:33], 4, v[30:31]
	v_lshl_add_u64 v[30:31], v[16:17], 0, v[32:33]
	;; [unrolled: 1-line block ×4, first 2 shown]
	s_mov_b64 s[44:45], 0
.LBB7_55:                               ;   Parent Loop BB7_9 Depth=1
                                        ; =>  This Inner Loop Header: Depth=2
	global_load_dwordx4 v[34:37], v[32:33], off offset:-8
	v_add_u32_e32 v4, 32, v4
	v_cmp_ge_i32_e64 s[4:5], v4, v13
	v_lshl_add_u64 v[32:33], v[32:33], 0, s[36:37]
	s_or_b64 s[44:45], s[4:5], s[44:45]
	s_waitcnt vmcnt(0)
	global_store_dwordx4 v[30:31], v[34:37], off offset:-8
	v_lshl_add_u64 v[30:31], v[30:31], 0, s[36:37]
	s_andn2_b64 exec, exec, s[44:45]
	s_cbranch_execnz .LBB7_55
.LBB7_56:                               ;   in Loop: Header=BB7_9 Depth=1
	s_or_b64 exec, exec, s[42:43]
	v_lshlrev_b32_e32 v4, 2, v13
	v_add_u32_e32 v30, v4, v2
	v_cmp_lt_i32_e64 s[4:5], v30, v9
	s_and_saveexec_b64 s[42:43], s[4:5]
	s_cbranch_execz .LBB7_64
; %bb.57:                               ;   in Loop: Header=BB7_9 Depth=1
	v_add_u32_e32 v13, v7, v4
	v_max_i32_e32 v13, v13, v9
	v_add_u32_e32 v13, v13, v38
	v_sub_u32_e32 v4, v13, v4
	v_cmp_lt_u32_e64 s[4:5], 31, v4
	s_mov_b64 s[46:47], -1
	s_and_saveexec_b64 s[44:45], s[4:5]
	s_cbranch_execz .LBB7_61
; %bb.58:                               ;   in Loop: Header=BB7_9 Depth=1
	v_lshrrev_b32_e32 v4, 5, v4
	v_add_u32_e32 v4, 1, v4
	v_and_b32_e32 v13, 0xffffffe, v4
	v_add_u32_e32 v31, 32, v30
	s_mov_b64 s[46:47], 0
	v_mov_b32_e32 v21, v13
	v_mov_b64_e32 v[32:33], v[30:31]
.LBB7_59:                               ;   Parent Loop BB7_9 Depth=1
                                        ; =>  This Inner Loop Header: Depth=2
	v_ashrrev_i32_e32 v37, 31, v32
	v_mov_b32_e32 v36, v32
	v_ashrrev_i32_e32 v35, 31, v33
	v_mov_b32_e32 v34, v33
	v_lshlrev_b64 v[36:37], 2, v[36:37]
	v_lshlrev_b64 v[34:35], 2, v[34:35]
	v_lshl_add_u64 v[40:41], v[26:27], 0, v[36:37]
	v_lshl_add_u64 v[42:43], v[26:27], 0, v[34:35]
	global_load_dword v31, v[40:41], off
	s_nop 0
	global_load_dword v40, v[42:43], off
	v_add_u32_e32 v21, -2, v21
	v_cmp_eq_u32_e64 s[4:5], 0, v21
	v_add_u32_e32 v33, 64, v33
	v_add_u32_e32 v32, 64, v32
	v_lshl_add_u64 v[36:37], v[28:29], 0, v[36:37]
	s_or_b64 s[46:47], s[4:5], s[46:47]
	v_lshl_add_u64 v[34:35], v[28:29], 0, v[34:35]
	s_waitcnt vmcnt(1)
	global_store_dword v[36:37], v31, off
	s_waitcnt vmcnt(1)
	global_store_dword v[34:35], v40, off
	s_andn2_b64 exec, exec, s[46:47]
	s_cbranch_execnz .LBB7_59
; %bb.60:                               ;   in Loop: Header=BB7_9 Depth=1
	s_or_b64 exec, exec, s[46:47]
	v_cmp_ne_u32_e64 s[4:5], v4, v13
	v_lshl_add_u32 v30, v13, 5, v30
	s_orn2_b64 s[46:47], s[4:5], exec
.LBB7_61:                               ;   in Loop: Header=BB7_9 Depth=1
	s_or_b64 exec, exec, s[44:45]
	s_and_b64 exec, exec, s[46:47]
	s_cbranch_execz .LBB7_64
; %bb.62:                               ;   in Loop: Header=BB7_9 Depth=1
	v_ashrrev_i32_e32 v31, 31, v30
	v_lshlrev_b64 v[26:27], 2, v[30:31]
	v_lshl_add_u64 v[24:25], v[24:25], 2, v[26:27]
	v_lshl_add_u64 v[22:23], v[24:25], 0, v[22:23]
	;; [unrolled: 1-line block ×4, first 2 shown]
	s_mov_b64 s[44:45], 0
.LBB7_63:                               ;   Parent Loop BB7_9 Depth=1
                                        ; =>  This Inner Loop Header: Depth=2
	global_load_dword v4, v[22:23], off
	v_add_u32_e32 v30, 32, v30
	v_cmp_ge_i32_e64 s[4:5], v30, v9
	v_lshl_add_u64 v[22:23], v[22:23], 0, s[38:39]
	s_or_b64 s[44:45], s[4:5], s[44:45]
	s_waitcnt vmcnt(0)
	global_store_dword v[24:25], v4, off
	v_lshl_add_u64 v[24:25], v[24:25], 0, s[38:39]
	s_andn2_b64 exec, exec, s[44:45]
	s_cbranch_execnz .LBB7_63
.LBB7_64:                               ;   in Loop: Header=BB7_9 Depth=1
	s_or_b64 exec, exec, s[42:43]
                                        ; implicit-def: $vgpr22_vgpr23
                                        ; implicit-def: $vgpr28_vgpr29
                                        ; implicit-def: $vgpr32_vgpr33
.LBB7_65:                               ;   in Loop: Header=BB7_9 Depth=1
	s_andn2_saveexec_b64 s[40:41], s[40:41]
	s_cbranch_execz .LBB7_8
; %bb.66:                               ;   in Loop: Header=BB7_9 Depth=1
	s_and_saveexec_b64 s[42:43], vcc
	s_cbranch_execz .LBB7_7
; %bb.67:                               ;   in Loop: Header=BB7_9 Depth=1
	s_mov_b64 s[4:5], -1
	v_mov_b32_e32 v4, v2
	v_mov_b64_e32 v[24:25], v[2:3]
	s_and_saveexec_b64 s[44:45], s[0:1]
	s_cbranch_execz .LBB7_73
; %bb.68:                               ;   in Loop: Header=BB7_9 Depth=1
	s_mov_b64 s[46:47], 0
	v_mov_b32_e32 v9, v39
	v_mov_b64_e32 v[24:25], v[6:7]
.LBB7_69:                               ;   Parent Loop BB7_9 Depth=1
                                        ; =>  This Inner Loop Header: Depth=2
	v_mov_b32_e32 v4, v24
	v_lshlrev_b64 v[26:27], 4, v[4:5]
	v_mov_b32_e32 v4, v25
	v_lshlrev_b64 v[44:45], 4, v[4:5]
	v_lshl_add_u64 v[30:31], v[28:29], 0, v[26:27]
	v_lshl_add_u64 v[40:41], v[28:29], 0, v[44:45]
	global_load_dwordx4 v[34:37], v[30:31], off
	s_nop 0
	global_load_dwordx4 v[40:43], v[40:41], off
	v_add_u32_e32 v9, -2, v9
	v_cmp_eq_u32_e64 s[4:5], 0, v9
	v_add_u32_e32 v24, 64, v24
	v_add_u32_e32 v25, 64, v25
	v_lshl_add_u64 v[26:27], v[32:33], 0, v[26:27]
	s_or_b64 s[46:47], s[4:5], s[46:47]
	v_lshl_add_u64 v[30:31], v[32:33], 0, v[44:45]
	s_waitcnt vmcnt(1)
	global_store_dwordx4 v[26:27], v[34:37], off
	s_waitcnt vmcnt(1)
	global_store_dwordx4 v[30:31], v[40:43], off
	s_andn2_b64 exec, exec, s[46:47]
	s_cbranch_execnz .LBB7_69
; %bb.70:                               ;   in Loop: Header=BB7_9 Depth=1
	s_or_b64 exec, exec, s[46:47]
	s_mov_b64 s[4:5], 0
                                        ; implicit-def: $vgpr24_vgpr25
	s_and_saveexec_b64 s[46:47], s[2:3]
; %bb.71:                               ;   in Loop: Header=BB7_9 Depth=1
	v_mov_b32_e32 v9, v5
	s_mov_b64 s[4:5], exec
	v_mov_b64_e32 v[24:25], v[8:9]
; %bb.72:                               ;   in Loop: Header=BB7_9 Depth=1
	s_or_b64 exec, exec, s[46:47]
	s_orn2_b64 s[4:5], s[4:5], exec
	v_mov_b32_e32 v4, v8
.LBB7_73:                               ;   in Loop: Header=BB7_9 Depth=1
	s_or_b64 exec, exec, s[44:45]
	s_and_b64 exec, exec, s[4:5]
	s_cbranch_execz .LBB7_7
; %bb.74:                               ;   in Loop: Header=BB7_9 Depth=1
	v_lshl_add_u64 v[22:23], s[14:15], 0, v[22:23]
	v_lshlrev_b64 v[24:25], 4, v[24:25]
	s_mov_b64 s[44:45], 0
.LBB7_75:                               ;   Parent Loop BB7_9 Depth=1
                                        ; =>  This Inner Loop Header: Depth=2
	v_lshl_add_u64 v[26:27], v[22:23], 0, v[24:25]
	global_load_dwordx4 v[26:29], v[26:27], off
	v_add_u32_e32 v4, 32, v4
	v_cmp_le_i32_e64 s[4:5], s49, v4
	v_lshl_add_u64 v[30:31], v[16:17], 0, v[24:25]
	v_lshl_add_u64 v[24:25], v[24:25], 0, s[36:37]
	s_or_b64 s[44:45], s[4:5], s[44:45]
	s_waitcnt vmcnt(0)
	global_store_dwordx4 v[30:31], v[26:29], off offset:-8
	s_andn2_b64 exec, exec, s[44:45]
	s_cbranch_execnz .LBB7_75
	s_branch .LBB7_7
.LBB7_76:
	s_or_b64 exec, exec, s[26:27]
	s_mov_b64 s[0:1], 0
.LBB7_77:
	s_andn2_b64 vcc, exec, s[0:1]
	s_cbranch_vccnz .LBB7_139
; %bb.78:
	s_and_b32 s0, s22, 15
	s_mov_b32 s1, 0
	s_mul_i32 s20, s21, s20
	s_cmp_lg_u64 s[0:1], 0
	s_cselect_b64 s[0:1], -1, 0
	s_and_b32 s4, s20, 3
	s_cmp_eq_u32 s4, 0
	s_cselect_b64 s[2:3], -1, 0
	s_cmp_lg_u32 s4, 0
	s_cselect_b64 s[4:5], -1, 0
	s_or_b64 s[4:5], s[0:1], s[4:5]
	s_mov_b64 s[0:1], -1
	s_and_b64 vcc, exec, s[4:5]
	s_cbranch_vccz .LBB7_99
; %bb.79:
	s_sub_i32 s0, 0, s22
	s_bfe_u32 s0, s0, 0x20002
	s_min_i32 s4, s0, s20
	v_cmp_gt_i32_e32 vcc, s4, v0
	s_and_saveexec_b64 s[0:1], vcc
	s_cbranch_execz .LBB7_82
; %bb.80:
	v_lshlrev_b32_e32 v2, 2, v0
	s_mov_b32 s9, 0
	v_mov_b32_e32 v3, 0
	s_lshl_b32 s8, s33, 2
	s_mov_b64 s[12:13], 0
	v_mov_b32_e32 v1, v0
.LBB7_81:                               ; =>This Inner Loop Header: Depth=1
	v_lshl_add_u64 v[4:5], s[22:23], 0, v[2:3]
	global_load_dword v6, v[4:5], off
	v_add_u32_e32 v1, s33, v1
	v_cmp_le_i32_e32 vcc, s4, v1
	v_lshl_add_u64 v[4:5], s[24:25], 0, v[2:3]
	v_lshl_add_u64 v[2:3], v[2:3], 0, s[8:9]
	s_or_b64 s[12:13], vcc, s[12:13]
	s_waitcnt vmcnt(0)
	global_store_dword v[4:5], v6, off
	s_andn2_b64 exec, exec, s[12:13]
	s_cbranch_execnz .LBB7_81
.LBB7_82:
	s_or_b64 exec, exec, s[0:1]
	s_ashr_i32 s5, s4, 31
	s_lshl_b64 s[16:17], s[4:5], 2
	s_add_u32 s8, s22, s16
	s_addc_u32 s9, s23, s17
	s_add_u32 s12, s24, s16
	s_addc_u32 s13, s25, s17
	s_sub_i32 s21, s20, s4
	s_ashr_i32 s0, s21, 31
	s_lshr_b32 s0, s0, 30
	s_add_i32 s0, s21, s0
	s_ashr_i32 s26, s0, 2
	v_cmp_gt_i32_e32 vcc, s26, v0
	s_and_saveexec_b64 s[14:15], vcc
	s_cbranch_execz .LBB7_90
; %bb.83:
	v_cvt_f32_u32_e32 v1, s33
	v_add_u32_e32 v2, s33, v0
	v_mov_b32_e32 v3, s33
	s_sub_i32 s18, 0, s33
	v_rcp_iflag_f32_e32 v1, v1
	v_cmp_gt_i32_e32 vcc, s26, v2
	v_max_i32_e32 v4, s26, v2
	s_cmp_eq_u32 s33, 1
	v_mul_f32_e32 v1, 0x4f7ffffe, v1
	v_cvt_u32_f32_e32 v1, v1
	v_addc_co_u32_e64 v2, s[0:1], v0, v3, vcc
	v_sub_u32_e32 v2, v4, v2
	v_mul_lo_u32 v3, s18, v1
	v_mul_hi_u32 v3, v1, v3
	v_add_u32_e32 v1, v1, v3
	v_mul_hi_u32 v1, v2, v1
	v_mul_lo_u32 v3, v1, s33
	v_sub_u32_e32 v2, v2, v3
	v_add_u32_e32 v4, 1, v1
	v_cmp_le_u32_e64 s[0:1], s33, v2
	v_subrev_u32_e32 v3, s33, v2
	s_mov_b64 s[18:19], -1
	v_cndmask_b32_e64 v1, v1, v4, s[0:1]
	v_cndmask_b32_e64 v2, v2, v3, s[0:1]
	v_add_u32_e32 v3, 1, v1
	v_cmp_le_u32_e64 s[0:1], s33, v2
	v_mov_b32_e32 v2, v0
	s_nop 0
	v_cndmask_b32_e64 v1, v1, v3, s[0:1]
	v_addc_co_u32_e32 v6, vcc, 1, v1, vcc
	v_cmp_lt_u32_e32 vcc, 1, v6
	s_cselect_b64 s[0:1], -1, 0
	s_and_b64 s[28:29], vcc, s[0:1]
	s_and_saveexec_b64 s[0:1], s[28:29]
	s_cbranch_execz .LBB7_87
; %bb.84:
	v_and_b32_e32 v7, -2, v6
	v_add_u32_e32 v1, 1, v0
	s_mov_b64 s[18:19], 0
	v_mov_b32_e32 v3, 0
	v_mov_b32_e32 v8, v7
	v_mov_b64_e32 v[4:5], v[0:1]
.LBB7_85:                               ; =>This Inner Loop Header: Depth=1
	v_mov_b32_e32 v2, v4
	v_lshlrev_b64 v[18:19], 4, v[2:3]
	v_mov_b32_e32 v2, v5
	v_lshl_add_u64 v[20:21], s[8:9], 0, v[18:19]
	v_lshlrev_b64 v[22:23], 4, v[2:3]
	v_lshl_add_u64 v[24:25], s[8:9], 0, v[22:23]
	global_load_dwordx4 v[10:13], v[20:21], off
	global_load_dwordx4 v[14:17], v[24:25], off
	v_add_u32_e32 v8, -2, v8
	v_cmp_eq_u32_e32 vcc, 0, v8
	v_add_u32_e32 v4, 2, v4
	v_add_u32_e32 v5, 2, v5
	v_lshl_add_u64 v[18:19], s[12:13], 0, v[18:19]
	s_or_b64 s[18:19], vcc, s[18:19]
	v_lshl_add_u64 v[20:21], s[12:13], 0, v[22:23]
	s_waitcnt vmcnt(1)
	global_store_dwordx4 v[18:19], v[10:13], off
	s_waitcnt vmcnt(1)
	global_store_dwordx4 v[20:21], v[14:17], off
	s_andn2_b64 exec, exec, s[18:19]
	s_cbranch_execnz .LBB7_85
; %bb.86:
	s_or_b64 exec, exec, s[18:19]
	v_cmp_ne_u32_e32 vcc, v6, v7
	v_add_u32_e32 v2, v0, v7
	s_orn2_b64 s[18:19], vcc, exec
.LBB7_87:
	s_or_b64 exec, exec, s[0:1]
	s_and_b64 exec, exec, s[18:19]
	s_cbranch_execz .LBB7_90
; %bb.88:
	v_mov_b32_e32 v3, 0
	v_lshl_add_u64 v[4:5], v[2:3], 4, s[16:17]
	s_mov_b32 s1, 0
	v_lshl_add_u64 v[4:5], v[4:5], 0, 8
	s_lshl_b32 s0, s33, 4
	s_mov_b64 s[16:17], 0
.LBB7_89:                               ; =>This Inner Loop Header: Depth=1
	v_lshl_add_u64 v[6:7], s[22:23], 0, v[4:5]
	global_load_dwordx4 v[6:9], v[6:7], off offset:-8
	v_add_u32_e32 v2, s33, v2
	v_cmp_le_i32_e32 vcc, s26, v2
	v_lshl_add_u64 v[10:11], s[24:25], 0, v[4:5]
	v_lshl_add_u64 v[4:5], v[4:5], 0, s[0:1]
	s_or_b64 s[16:17], vcc, s[16:17]
	s_waitcnt vmcnt(0)
	global_store_dwordx4 v[10:11], v[6:9], off offset:-8
	s_andn2_b64 exec, exec, s[16:17]
	s_cbranch_execnz .LBB7_89
.LBB7_90:
	s_or_b64 exec, exec, s[14:15]
	v_lshl_add_u32 v2, s26, 2, v0
	v_cmp_gt_i32_e32 vcc, s21, v2
	s_and_saveexec_b64 s[14:15], vcc
	s_cbranch_execz .LBB7_98
; %bb.91:
	v_cvt_f32_u32_e32 v1, s33
	v_add_u32_e32 v3, s33, v2
	v_mov_b32_e32 v4, s33
	s_sub_i32 s16, 0, s33
	v_rcp_iflag_f32_e32 v1, v1
	v_cmp_gt_i32_e32 vcc, s21, v3
	v_max_i32_e32 v5, s21, v3
	s_cmp_eq_u32 s33, 1
	v_mul_f32_e32 v1, 0x4f7ffffe, v1
	v_cvt_u32_f32_e32 v1, v1
	v_addc_co_u32_e64 v3, s[0:1], v2, v4, vcc
	v_sub_u32_e32 v3, v5, v3
	v_mul_lo_u32 v4, s16, v1
	v_mul_hi_u32 v4, v1, v4
	v_add_u32_e32 v1, v1, v4
	v_mul_hi_u32 v1, v3, v1
	v_mul_lo_u32 v4, v1, s33
	v_sub_u32_e32 v3, v3, v4
	v_add_u32_e32 v5, 1, v1
	v_cmp_le_u32_e64 s[0:1], s33, v3
	v_subrev_u32_e32 v4, s33, v3
	s_mov_b64 s[16:17], -1
	v_cndmask_b32_e64 v1, v1, v5, s[0:1]
	v_cndmask_b32_e64 v3, v3, v4, s[0:1]
	v_add_u32_e32 v4, 1, v1
	v_cmp_le_u32_e64 s[0:1], s33, v3
	s_nop 1
	v_cndmask_b32_e64 v1, v1, v4, s[0:1]
	v_addc_co_u32_e32 v1, vcc, 1, v1, vcc
	v_cmp_lt_u32_e32 vcc, 15, v1
	s_cselect_b64 s[0:1], -1, 0
	s_and_b64 s[18:19], vcc, s[0:1]
	s_and_saveexec_b64 s[0:1], s[18:19]
	s_cbranch_execz .LBB7_95
; %bb.92:
	v_and_b32_e32 v3, -16, v1
	s_mov_b64 s[16:17], 0
	v_mov_b32_e32 v4, v2
	v_mov_b32_e32 v6, v3
.LBB7_93:                               ; =>This Inner Loop Header: Depth=1
	v_ashrrev_i32_e32 v5, 31, v4
	v_lshlrev_b64 v[24:25], 2, v[4:5]
	v_lshl_add_u64 v[26:27], s[8:9], 0, v[24:25]
	global_load_dwordx4 v[8:11], v[26:27], off
	global_load_dwordx4 v[12:15], v[26:27], off offset:16
	global_load_dwordx4 v[16:19], v[26:27], off offset:32
	;; [unrolled: 1-line block ×3, first 2 shown]
	v_add_u32_e32 v6, -16, v6
	v_cmp_eq_u32_e32 vcc, 0, v6
	v_lshl_add_u64 v[24:25], s[12:13], 0, v[24:25]
	s_or_b64 s[16:17], vcc, s[16:17]
	v_add_u32_e32 v4, 16, v4
	s_waitcnt vmcnt(3)
	global_store_dwordx4 v[24:25], v[8:11], off
	s_waitcnt vmcnt(3)
	global_store_dwordx4 v[24:25], v[12:15], off offset:16
	s_waitcnt vmcnt(3)
	global_store_dwordx4 v[24:25], v[16:19], off offset:32
	;; [unrolled: 2-line block ×3, first 2 shown]
	s_andn2_b64 exec, exec, s[16:17]
	s_cbranch_execnz .LBB7_93
; %bb.94:
	s_or_b64 exec, exec, s[16:17]
	v_cmp_ne_u32_e32 vcc, v1, v3
	v_add_u32_e32 v2, v2, v3
	s_orn2_b64 s[16:17], vcc, exec
.LBB7_95:
	s_or_b64 exec, exec, s[0:1]
	s_and_b64 exec, exec, s[16:17]
	s_cbranch_execz .LBB7_98
; %bb.96:
	v_ashrrev_i32_e32 v3, 31, v2
	v_lshlrev_b64 v[4:5], 2, v[2:3]
	v_lshl_add_u64 v[4:5], s[4:5], 2, v[4:5]
	s_lshl_b32 s0, s33, 2
	s_mov_b32 s1, 0
	s_mov_b64 s[4:5], 0
.LBB7_97:                               ; =>This Inner Loop Header: Depth=1
	v_lshl_add_u64 v[6:7], s[22:23], 0, v[4:5]
	global_load_dword v1, v[6:7], off
	v_add_u32_e32 v2, s33, v2
	v_cmp_le_i32_e32 vcc, s21, v2
	v_lshl_add_u64 v[6:7], s[24:25], 0, v[4:5]
	v_lshl_add_u64 v[4:5], v[4:5], 0, s[0:1]
	s_or_b64 s[4:5], vcc, s[4:5]
	s_waitcnt vmcnt(0)
	global_store_dword v[6:7], v1, off
	s_andn2_b64 exec, exec, s[4:5]
	s_cbranch_execnz .LBB7_97
.LBB7_98:
	s_or_b64 exec, exec, s[14:15]
	s_mov_b64 s[0:1], 0
.LBB7_99:
	s_and_b64 vcc, exec, s[0:1]
	s_cbranch_vccz .LBB7_109
; %bb.100:
	s_ashr_i32 s12, s20, 2
	v_cmp_gt_i32_e32 vcc, s12, v0
	s_and_saveexec_b64 s[4:5], vcc
	s_cbranch_execz .LBB7_108
; %bb.101:
	v_cvt_f32_u32_e32 v1, s33
	v_add_u32_e32 v2, s33, v0
	v_mov_b32_e32 v3, s33
	s_sub_i32 s8, 0, s33
	v_rcp_iflag_f32_e32 v1, v1
	v_cmp_gt_i32_e32 vcc, s12, v2
	v_max_i32_e32 v4, s12, v2
	s_cmp_eq_u32 s33, 1
	v_mul_f32_e32 v1, 0x4f7ffffe, v1
	v_cvt_u32_f32_e32 v1, v1
	v_addc_co_u32_e64 v2, s[0:1], v0, v3, vcc
	v_sub_u32_e32 v2, v4, v2
	v_mul_lo_u32 v3, s8, v1
	v_mul_hi_u32 v3, v1, v3
	v_add_u32_e32 v1, v1, v3
	v_mul_hi_u32 v1, v2, v1
	v_mul_lo_u32 v3, v1, s33
	v_sub_u32_e32 v2, v2, v3
	v_add_u32_e32 v4, 1, v1
	v_cmp_le_u32_e64 s[0:1], s33, v2
	v_subrev_u32_e32 v3, s33, v2
	s_mov_b64 s[8:9], -1
	v_cndmask_b32_e64 v1, v1, v4, s[0:1]
	v_cndmask_b32_e64 v2, v2, v3, s[0:1]
	v_add_u32_e32 v3, 1, v1
	v_cmp_le_u32_e64 s[0:1], s33, v2
	v_mov_b32_e32 v2, v0
	s_nop 0
	v_cndmask_b32_e64 v1, v1, v3, s[0:1]
	v_addc_co_u32_e32 v6, vcc, 1, v1, vcc
	v_cmp_lt_u32_e32 vcc, 1, v6
	s_cselect_b64 s[0:1], -1, 0
	s_and_b64 s[14:15], vcc, s[0:1]
	s_and_saveexec_b64 s[0:1], s[14:15]
	s_cbranch_execz .LBB7_105
; %bb.102:
	v_and_b32_e32 v7, -2, v6
	v_add_u32_e32 v1, 1, v0
	s_mov_b64 s[8:9], 0
	v_mov_b32_e32 v3, 0
	v_mov_b32_e32 v8, v7
	v_mov_b64_e32 v[4:5], v[0:1]
.LBB7_103:                              ; =>This Inner Loop Header: Depth=1
	v_mov_b32_e32 v2, v4
	v_lshlrev_b64 v[18:19], 4, v[2:3]
	v_mov_b32_e32 v2, v5
	v_lshl_add_u64 v[20:21], s[22:23], 0, v[18:19]
	v_lshlrev_b64 v[22:23], 4, v[2:3]
	v_lshl_add_u64 v[24:25], s[22:23], 0, v[22:23]
	global_load_dwordx4 v[10:13], v[20:21], off
	global_load_dwordx4 v[14:17], v[24:25], off
	v_add_u32_e32 v8, -2, v8
	v_cmp_eq_u32_e32 vcc, 0, v8
	v_add_u32_e32 v4, 2, v4
	v_add_u32_e32 v5, 2, v5
	v_lshl_add_u64 v[18:19], s[24:25], 0, v[18:19]
	s_or_b64 s[8:9], vcc, s[8:9]
	v_lshl_add_u64 v[20:21], s[24:25], 0, v[22:23]
	s_waitcnt vmcnt(1)
	global_store_dwordx4 v[18:19], v[10:13], off
	s_waitcnt vmcnt(1)
	global_store_dwordx4 v[20:21], v[14:17], off
	s_andn2_b64 exec, exec, s[8:9]
	s_cbranch_execnz .LBB7_103
; %bb.104:
	s_or_b64 exec, exec, s[8:9]
	v_cmp_ne_u32_e32 vcc, v6, v7
	v_add_u32_e32 v2, v0, v7
	s_orn2_b64 s[8:9], vcc, exec
.LBB7_105:
	s_or_b64 exec, exec, s[0:1]
	s_and_b64 exec, exec, s[8:9]
	s_cbranch_execz .LBB7_108
; %bb.106:
	v_mov_b32_e32 v3, 0
	v_lshlrev_b64 v[4:5], 4, v[2:3]
	s_mov_b32 s1, 0
	v_or_b32_e32 v4, 8, v4
	s_lshl_b32 s0, s33, 4
	s_mov_b64 s[8:9], 0
.LBB7_107:                              ; =>This Inner Loop Header: Depth=1
	v_lshl_add_u64 v[6:7], s[22:23], 0, v[4:5]
	global_load_dwordx4 v[6:9], v[6:7], off offset:-8
	v_add_u32_e32 v2, s33, v2
	v_cmp_le_i32_e32 vcc, s12, v2
	v_lshl_add_u64 v[10:11], s[24:25], 0, v[4:5]
	v_lshl_add_u64 v[4:5], v[4:5], 0, s[0:1]
	s_or_b64 s[8:9], vcc, s[8:9]
	s_waitcnt vmcnt(0)
	global_store_dwordx4 v[10:11], v[6:9], off offset:-8
	s_andn2_b64 exec, exec, s[8:9]
	s_cbranch_execnz .LBB7_107
.LBB7_108:
	s_or_b64 exec, exec, s[4:5]
.LBB7_109:
	s_and_b32 s0, s10, 15
	s_mov_b32 s1, 0
	s_cmp_lg_u64 s[0:1], 0
	s_cselect_b64 s[4:5], -1, 0
	s_xor_b64 s[2:3], s[2:3], -1
	s_or_b64 s[2:3], s[2:3], s[4:5]
	s_mov_b64 s[0:1], -1
	s_and_b64 vcc, exec, s[2:3]
	s_cbranch_vccz .LBB7_130
; %bb.110:
	s_sub_i32 s0, 0, s10
	s_bfe_u32 s0, s0, 0x20002
	s_min_i32 s2, s0, s20
	v_cmp_gt_i32_e32 vcc, s2, v0
	s_and_saveexec_b64 s[0:1], vcc
	s_cbranch_execz .LBB7_113
; %bb.111:
	v_lshlrev_b32_e32 v2, 2, v0
	s_mov_b32 s5, 0
	v_mov_b32_e32 v3, 0
	s_lshl_b32 s4, s33, 2
	s_mov_b64 s[8:9], 0
	v_mov_b32_e32 v1, v0
.LBB7_112:                              ; =>This Inner Loop Header: Depth=1
	v_lshl_add_u64 v[4:5], s[10:11], 0, v[2:3]
	global_load_dword v6, v[4:5], off
	v_add_u32_e32 v1, s33, v1
	v_cmp_le_i32_e32 vcc, s2, v1
	v_lshl_add_u64 v[4:5], s[6:7], 0, v[2:3]
	v_lshl_add_u64 v[2:3], v[2:3], 0, s[4:5]
	s_or_b64 s[8:9], vcc, s[8:9]
	s_waitcnt vmcnt(0)
	global_store_dword v[4:5], v6, off
	s_andn2_b64 exec, exec, s[8:9]
	s_cbranch_execnz .LBB7_112
.LBB7_113:
	s_or_b64 exec, exec, s[0:1]
	s_ashr_i32 s3, s2, 31
	s_lshl_b64 s[14:15], s[2:3], 2
	s_add_u32 s4, s10, s14
	s_addc_u32 s5, s11, s15
	s_add_u32 s8, s6, s14
	s_addc_u32 s9, s7, s15
	s_sub_i32 s18, s20, s2
	s_ashr_i32 s0, s18, 31
	s_lshr_b32 s0, s0, 30
	s_add_i32 s0, s18, s0
	s_ashr_i32 s19, s0, 2
	v_cmp_gt_i32_e32 vcc, s19, v0
	s_and_saveexec_b64 s[12:13], vcc
	s_cbranch_execz .LBB7_121
; %bb.114:
	v_cvt_f32_u32_e32 v1, s33
	v_add_u32_e32 v2, s33, v0
	v_mov_b32_e32 v3, s33
	s_sub_i32 s16, 0, s33
	v_rcp_iflag_f32_e32 v1, v1
	v_cmp_gt_i32_e32 vcc, s19, v2
	v_max_i32_e32 v4, s19, v2
	s_cmp_eq_u32 s33, 1
	v_mul_f32_e32 v1, 0x4f7ffffe, v1
	v_cvt_u32_f32_e32 v1, v1
	v_addc_co_u32_e64 v2, s[0:1], v0, v3, vcc
	v_sub_u32_e32 v2, v4, v2
	v_mul_lo_u32 v3, s16, v1
	v_mul_hi_u32 v3, v1, v3
	v_add_u32_e32 v1, v1, v3
	v_mul_hi_u32 v1, v2, v1
	v_mul_lo_u32 v3, v1, s33
	v_sub_u32_e32 v2, v2, v3
	v_add_u32_e32 v4, 1, v1
	v_cmp_le_u32_e64 s[0:1], s33, v2
	v_subrev_u32_e32 v3, s33, v2
	s_mov_b64 s[16:17], -1
	v_cndmask_b32_e64 v1, v1, v4, s[0:1]
	v_cndmask_b32_e64 v2, v2, v3, s[0:1]
	v_add_u32_e32 v3, 1, v1
	v_cmp_le_u32_e64 s[0:1], s33, v2
	v_mov_b32_e32 v2, v0
	s_nop 0
	v_cndmask_b32_e64 v1, v1, v3, s[0:1]
	v_addc_co_u32_e32 v6, vcc, 1, v1, vcc
	v_cmp_lt_u32_e32 vcc, 1, v6
	s_cselect_b64 s[0:1], -1, 0
	s_and_b64 s[22:23], vcc, s[0:1]
	s_and_saveexec_b64 s[0:1], s[22:23]
	s_cbranch_execz .LBB7_118
; %bb.115:
	v_and_b32_e32 v7, -2, v6
	v_add_u32_e32 v1, 1, v0
	s_mov_b64 s[16:17], 0
	v_mov_b32_e32 v3, 0
	v_mov_b32_e32 v8, v7
	v_mov_b64_e32 v[4:5], v[0:1]
.LBB7_116:                              ; =>This Inner Loop Header: Depth=1
	v_mov_b32_e32 v2, v4
	v_lshlrev_b64 v[18:19], 4, v[2:3]
	v_mov_b32_e32 v2, v5
	v_lshl_add_u64 v[20:21], s[4:5], 0, v[18:19]
	v_lshlrev_b64 v[22:23], 4, v[2:3]
	v_lshl_add_u64 v[24:25], s[4:5], 0, v[22:23]
	global_load_dwordx4 v[10:13], v[20:21], off
	global_load_dwordx4 v[14:17], v[24:25], off
	v_add_u32_e32 v8, -2, v8
	v_cmp_eq_u32_e32 vcc, 0, v8
	v_add_u32_e32 v4, 2, v4
	v_add_u32_e32 v5, 2, v5
	v_lshl_add_u64 v[18:19], s[8:9], 0, v[18:19]
	s_or_b64 s[16:17], vcc, s[16:17]
	v_lshl_add_u64 v[20:21], s[8:9], 0, v[22:23]
	s_waitcnt vmcnt(1)
	global_store_dwordx4 v[18:19], v[10:13], off
	s_waitcnt vmcnt(1)
	global_store_dwordx4 v[20:21], v[14:17], off
	s_andn2_b64 exec, exec, s[16:17]
	s_cbranch_execnz .LBB7_116
; %bb.117:
	s_or_b64 exec, exec, s[16:17]
	v_cmp_ne_u32_e32 vcc, v6, v7
	v_add_u32_e32 v2, v0, v7
	s_orn2_b64 s[16:17], vcc, exec
.LBB7_118:
	s_or_b64 exec, exec, s[0:1]
	s_and_b64 exec, exec, s[16:17]
	s_cbranch_execz .LBB7_121
; %bb.119:
	v_mov_b32_e32 v3, 0
	v_lshl_add_u64 v[4:5], v[2:3], 4, s[14:15]
	s_mov_b32 s1, 0
	v_lshl_add_u64 v[4:5], v[4:5], 0, 8
	s_lshl_b32 s0, s33, 4
	s_mov_b64 s[14:15], 0
.LBB7_120:                              ; =>This Inner Loop Header: Depth=1
	v_lshl_add_u64 v[6:7], s[10:11], 0, v[4:5]
	global_load_dwordx4 v[6:9], v[6:7], off offset:-8
	v_add_u32_e32 v2, s33, v2
	v_cmp_le_i32_e32 vcc, s19, v2
	v_lshl_add_u64 v[10:11], s[6:7], 0, v[4:5]
	v_lshl_add_u64 v[4:5], v[4:5], 0, s[0:1]
	s_or_b64 s[14:15], vcc, s[14:15]
	s_waitcnt vmcnt(0)
	global_store_dwordx4 v[10:11], v[6:9], off offset:-8
	s_andn2_b64 exec, exec, s[14:15]
	s_cbranch_execnz .LBB7_120
.LBB7_121:
	s_or_b64 exec, exec, s[12:13]
	v_lshl_add_u32 v2, s19, 2, v0
	v_cmp_gt_i32_e32 vcc, s18, v2
	s_and_saveexec_b64 s[12:13], vcc
	s_cbranch_execz .LBB7_129
; %bb.122:
	v_cvt_f32_u32_e32 v1, s33
	v_add_u32_e32 v3, s33, v2
	v_mov_b32_e32 v4, s33
	s_sub_i32 s14, 0, s33
	v_rcp_iflag_f32_e32 v1, v1
	v_cmp_gt_i32_e32 vcc, s18, v3
	v_max_i32_e32 v5, s18, v3
	s_cmp_eq_u32 s33, 1
	v_mul_f32_e32 v1, 0x4f7ffffe, v1
	v_cvt_u32_f32_e32 v1, v1
	v_addc_co_u32_e64 v3, s[0:1], v2, v4, vcc
	v_sub_u32_e32 v3, v5, v3
	v_mul_lo_u32 v4, s14, v1
	v_mul_hi_u32 v4, v1, v4
	v_add_u32_e32 v1, v1, v4
	v_mul_hi_u32 v1, v3, v1
	v_mul_lo_u32 v4, v1, s33
	v_sub_u32_e32 v3, v3, v4
	v_add_u32_e32 v5, 1, v1
	v_cmp_le_u32_e64 s[0:1], s33, v3
	v_subrev_u32_e32 v4, s33, v3
	s_mov_b64 s[14:15], -1
	v_cndmask_b32_e64 v1, v1, v5, s[0:1]
	v_cndmask_b32_e64 v3, v3, v4, s[0:1]
	v_add_u32_e32 v4, 1, v1
	v_cmp_le_u32_e64 s[0:1], s33, v3
	s_nop 1
	v_cndmask_b32_e64 v1, v1, v4, s[0:1]
	v_addc_co_u32_e32 v1, vcc, 1, v1, vcc
	v_cmp_lt_u32_e32 vcc, 15, v1
	s_cselect_b64 s[0:1], -1, 0
	s_and_b64 s[16:17], vcc, s[0:1]
	s_and_saveexec_b64 s[0:1], s[16:17]
	s_cbranch_execz .LBB7_126
; %bb.123:
	v_and_b32_e32 v3, -16, v1
	s_mov_b64 s[14:15], 0
	v_mov_b32_e32 v4, v2
	v_mov_b32_e32 v6, v3
.LBB7_124:                              ; =>This Inner Loop Header: Depth=1
	v_ashrrev_i32_e32 v5, 31, v4
	v_lshlrev_b64 v[24:25], 2, v[4:5]
	v_lshl_add_u64 v[26:27], s[4:5], 0, v[24:25]
	global_load_dwordx4 v[8:11], v[26:27], off
	global_load_dwordx4 v[12:15], v[26:27], off offset:16
	global_load_dwordx4 v[16:19], v[26:27], off offset:32
	;; [unrolled: 1-line block ×3, first 2 shown]
	v_add_u32_e32 v6, -16, v6
	v_cmp_eq_u32_e32 vcc, 0, v6
	v_lshl_add_u64 v[24:25], s[8:9], 0, v[24:25]
	s_or_b64 s[14:15], vcc, s[14:15]
	v_add_u32_e32 v4, 16, v4
	s_waitcnt vmcnt(3)
	global_store_dwordx4 v[24:25], v[8:11], off
	s_waitcnt vmcnt(3)
	global_store_dwordx4 v[24:25], v[12:15], off offset:16
	s_waitcnt vmcnt(3)
	global_store_dwordx4 v[24:25], v[16:19], off offset:32
	;; [unrolled: 2-line block ×3, first 2 shown]
	s_andn2_b64 exec, exec, s[14:15]
	s_cbranch_execnz .LBB7_124
; %bb.125:
	s_or_b64 exec, exec, s[14:15]
	v_cmp_ne_u32_e32 vcc, v1, v3
	v_add_u32_e32 v2, v2, v3
	s_orn2_b64 s[14:15], vcc, exec
.LBB7_126:
	s_or_b64 exec, exec, s[0:1]
	s_and_b64 exec, exec, s[14:15]
	s_cbranch_execz .LBB7_129
; %bb.127:
	v_ashrrev_i32_e32 v3, 31, v2
	v_lshlrev_b64 v[4:5], 2, v[2:3]
	v_lshl_add_u64 v[4:5], s[2:3], 2, v[4:5]
	s_lshl_b32 s0, s33, 2
	s_mov_b32 s1, 0
	s_mov_b64 s[2:3], 0
.LBB7_128:                              ; =>This Inner Loop Header: Depth=1
	v_lshl_add_u64 v[6:7], s[10:11], 0, v[4:5]
	global_load_dword v1, v[6:7], off
	v_add_u32_e32 v2, s33, v2
	v_cmp_le_i32_e32 vcc, s18, v2
	v_lshl_add_u64 v[6:7], s[6:7], 0, v[4:5]
	v_lshl_add_u64 v[4:5], v[4:5], 0, s[0:1]
	s_or_b64 s[2:3], vcc, s[2:3]
	s_waitcnt vmcnt(0)
	global_store_dword v[6:7], v1, off
	s_andn2_b64 exec, exec, s[2:3]
	s_cbranch_execnz .LBB7_128
.LBB7_129:
	s_or_b64 exec, exec, s[12:13]
	s_mov_b64 s[0:1], 0
.LBB7_130:
	s_and_b64 vcc, exec, s[0:1]
	s_cbranch_vccz .LBB7_139
; %bb.131:
	s_ashr_i32 s4, s20, 2
	v_cmp_gt_i32_e32 vcc, s4, v0
	s_and_saveexec_b64 s[0:1], vcc
	s_cbranch_execz .LBB7_139
; %bb.132:
	v_cvt_f32_u32_e32 v1, s33
	v_add_u32_e32 v2, s33, v0
	v_mov_b32_e32 v3, s33
	s_sub_i32 s2, 0, s33
	v_rcp_iflag_f32_e32 v1, v1
	v_cmp_gt_i32_e32 vcc, s4, v2
	v_max_i32_e32 v4, s4, v2
	s_cmp_eq_u32 s33, 1
	v_mul_f32_e32 v1, 0x4f7ffffe, v1
	v_cvt_u32_f32_e32 v1, v1
	v_addc_co_u32_e64 v2, s[0:1], v0, v3, vcc
	v_sub_u32_e32 v2, v4, v2
	v_mul_lo_u32 v3, s2, v1
	v_mul_hi_u32 v3, v1, v3
	v_add_u32_e32 v1, v1, v3
	v_mul_hi_u32 v1, v2, v1
	v_mul_lo_u32 v3, v1, s33
	v_sub_u32_e32 v2, v2, v3
	v_add_u32_e32 v4, 1, v1
	v_cmp_le_u32_e64 s[0:1], s33, v2
	v_subrev_u32_e32 v3, s33, v2
	s_mov_b64 s[2:3], -1
	v_cndmask_b32_e64 v1, v1, v4, s[0:1]
	v_cndmask_b32_e64 v2, v2, v3, s[0:1]
	v_add_u32_e32 v3, 1, v1
	v_cmp_le_u32_e64 s[0:1], s33, v2
	s_nop 1
	v_cndmask_b32_e64 v1, v1, v3, s[0:1]
	v_addc_co_u32_e32 v6, vcc, 1, v1, vcc
	v_cmp_lt_u32_e32 vcc, 1, v6
	s_cselect_b64 s[0:1], -1, 0
	s_and_b64 s[8:9], vcc, s[0:1]
	s_and_saveexec_b64 s[0:1], s[8:9]
	s_cbranch_execz .LBB7_136
; %bb.133:
	v_and_b32_e32 v7, -2, v6
	v_add_u32_e32 v1, 1, v0
	s_mov_b64 s[2:3], 0
	v_mov_b32_e32 v3, 0
	v_mov_b32_e32 v8, v7
	v_mov_b64_e32 v[4:5], v[0:1]
.LBB7_134:                              ; =>This Inner Loop Header: Depth=1
	v_mov_b32_e32 v2, v4
	v_lshlrev_b64 v[18:19], 4, v[2:3]
	v_mov_b32_e32 v2, v5
	v_lshl_add_u64 v[20:21], s[10:11], 0, v[18:19]
	v_lshlrev_b64 v[22:23], 4, v[2:3]
	v_lshl_add_u64 v[24:25], s[10:11], 0, v[22:23]
	global_load_dwordx4 v[10:13], v[20:21], off
	global_load_dwordx4 v[14:17], v[24:25], off
	v_add_u32_e32 v8, -2, v8
	v_cmp_eq_u32_e32 vcc, 0, v8
	v_add_u32_e32 v4, 2, v4
	v_add_u32_e32 v5, 2, v5
	v_lshl_add_u64 v[18:19], s[6:7], 0, v[18:19]
	s_or_b64 s[2:3], vcc, s[2:3]
	v_lshl_add_u64 v[20:21], s[6:7], 0, v[22:23]
	s_waitcnt vmcnt(1)
	global_store_dwordx4 v[18:19], v[10:13], off
	s_waitcnt vmcnt(1)
	global_store_dwordx4 v[20:21], v[14:17], off
	s_andn2_b64 exec, exec, s[2:3]
	s_cbranch_execnz .LBB7_134
; %bb.135:
	s_or_b64 exec, exec, s[2:3]
	v_cmp_ne_u32_e32 vcc, v6, v7
	v_add_u32_e32 v0, v0, v7
	s_orn2_b64 s[2:3], vcc, exec
.LBB7_136:
	s_or_b64 exec, exec, s[0:1]
	s_and_b64 exec, exec, s[2:3]
	s_cbranch_execz .LBB7_139
; %bb.137:
	v_mov_b32_e32 v1, 0
	v_lshlrev_b64 v[2:3], 4, v[0:1]
	s_mov_b32 s1, 0
	v_or_b32_e32 v2, 8, v2
	s_lshl_b32 s0, s33, 4
	s_mov_b64 s[2:3], 0
.LBB7_138:                              ; =>This Inner Loop Header: Depth=1
	v_lshl_add_u64 v[4:5], s[10:11], 0, v[2:3]
	global_load_dwordx4 v[4:7], v[4:5], off offset:-8
	v_add_u32_e32 v0, s33, v0
	v_cmp_le_i32_e32 vcc, s4, v0
	v_lshl_add_u64 v[8:9], s[6:7], 0, v[2:3]
	v_lshl_add_u64 v[2:3], v[2:3], 0, s[0:1]
	s_or_b64 s[2:3], vcc, s[2:3]
	s_waitcnt vmcnt(0)
	global_store_dwordx4 v[8:9], v[4:7], off offset:-8
	s_andn2_b64 exec, exec, s[2:3]
	s_cbranch_execnz .LBB7_138
.LBB7_139:
	s_endpgm
.LBB7_140:
                                        ; implicit-def: $sgpr26_sgpr27
	s_branch .LBB7_3
	.section	.rodata,"a",@progbits
	.p2align	6, 0x0
	.amdhsa_kernel _ZN4vllm30reshape_and_cache_flash_kernelIffLNS_18Fp8KVCacheDataTypeE0EEEvPKT_S4_PT0_S6_PKlllllliiiPKfSA_i
		.amdhsa_group_segment_fixed_size 0
		.amdhsa_private_segment_fixed_size 0
		.amdhsa_kernarg_size 376
		.amdhsa_user_sgpr_count 2
		.amdhsa_user_sgpr_dispatch_ptr 0
		.amdhsa_user_sgpr_queue_ptr 0
		.amdhsa_user_sgpr_kernarg_segment_ptr 1
		.amdhsa_user_sgpr_dispatch_id 0
		.amdhsa_user_sgpr_kernarg_preload_length 0
		.amdhsa_user_sgpr_kernarg_preload_offset 0
		.amdhsa_user_sgpr_private_segment_size 0
		.amdhsa_uses_dynamic_stack 0
		.amdhsa_enable_private_segment 0
		.amdhsa_system_sgpr_workgroup_id_x 1
		.amdhsa_system_sgpr_workgroup_id_y 0
		.amdhsa_system_sgpr_workgroup_id_z 0
		.amdhsa_system_sgpr_workgroup_info 0
		.amdhsa_system_vgpr_workitem_id 0
		.amdhsa_next_free_vgpr 54
		.amdhsa_next_free_sgpr 54
		.amdhsa_accum_offset 56
		.amdhsa_reserve_vcc 1
		.amdhsa_float_round_mode_32 0
		.amdhsa_float_round_mode_16_64 0
		.amdhsa_float_denorm_mode_32 3
		.amdhsa_float_denorm_mode_16_64 3
		.amdhsa_dx10_clamp 1
		.amdhsa_ieee_mode 1
		.amdhsa_fp16_overflow 0
		.amdhsa_tg_split 0
		.amdhsa_exception_fp_ieee_invalid_op 0
		.amdhsa_exception_fp_denorm_src 0
		.amdhsa_exception_fp_ieee_div_zero 0
		.amdhsa_exception_fp_ieee_overflow 0
		.amdhsa_exception_fp_ieee_underflow 0
		.amdhsa_exception_fp_ieee_inexact 0
		.amdhsa_exception_int_div_zero 0
	.end_amdhsa_kernel
	.section	.text._ZN4vllm30reshape_and_cache_flash_kernelIffLNS_18Fp8KVCacheDataTypeE0EEEvPKT_S4_PT0_S6_PKlllllliiiPKfSA_i,"axG",@progbits,_ZN4vllm30reshape_and_cache_flash_kernelIffLNS_18Fp8KVCacheDataTypeE0EEEvPKT_S4_PT0_S6_PKlllllliiiPKfSA_i,comdat
.Lfunc_end7:
	.size	_ZN4vllm30reshape_and_cache_flash_kernelIffLNS_18Fp8KVCacheDataTypeE0EEEvPKT_S4_PT0_S6_PKlllllliiiPKfSA_i, .Lfunc_end7-_ZN4vllm30reshape_and_cache_flash_kernelIffLNS_18Fp8KVCacheDataTypeE0EEEvPKT_S4_PT0_S6_PKlllllliiiPKfSA_i
                                        ; -- End function
	.section	.AMDGPU.csdata,"",@progbits
; Kernel info:
; codeLenInByte = 7180
; NumSgprs: 60
; NumVgprs: 54
; NumAgprs: 0
; TotalNumVgprs: 54
; ScratchSize: 0
; MemoryBound: 0
; FloatMode: 240
; IeeeMode: 1
; LDSByteSize: 0 bytes/workgroup (compile time only)
; SGPRBlocks: 7
; VGPRBlocks: 6
; NumSGPRsForWavesPerEU: 60
; NumVGPRsForWavesPerEU: 54
; AccumOffset: 56
; Occupancy: 8
; WaveLimiterHint : 1
; COMPUTE_PGM_RSRC2:SCRATCH_EN: 0
; COMPUTE_PGM_RSRC2:USER_SGPR: 2
; COMPUTE_PGM_RSRC2:TRAP_HANDLER: 0
; COMPUTE_PGM_RSRC2:TGID_X_EN: 1
; COMPUTE_PGM_RSRC2:TGID_Y_EN: 0
; COMPUTE_PGM_RSRC2:TGID_Z_EN: 0
; COMPUTE_PGM_RSRC2:TIDIG_COMP_CNT: 0
; COMPUTE_PGM_RSRC3_GFX90A:ACCUM_OFFSET: 13
; COMPUTE_PGM_RSRC3_GFX90A:TG_SPLIT: 0
	.section	.text._ZN4vllm30reshape_and_cache_flash_kernelIttLNS_18Fp8KVCacheDataTypeE0EEEvPKT_S4_PT0_S6_PKlllllliiiPKfSA_i,"axG",@progbits,_ZN4vllm30reshape_and_cache_flash_kernelIttLNS_18Fp8KVCacheDataTypeE0EEEvPKT_S4_PT0_S6_PKlllllliiiPKfSA_i,comdat
	.protected	_ZN4vllm30reshape_and_cache_flash_kernelIttLNS_18Fp8KVCacheDataTypeE0EEEvPKT_S4_PT0_S6_PKlllllliiiPKfSA_i ; -- Begin function _ZN4vllm30reshape_and_cache_flash_kernelIttLNS_18Fp8KVCacheDataTypeE0EEEvPKT_S4_PT0_S6_PKlllllliiiPKfSA_i
	.globl	_ZN4vllm30reshape_and_cache_flash_kernelIttLNS_18Fp8KVCacheDataTypeE0EEEvPKT_S4_PT0_S6_PKlllllliiiPKfSA_i
	.p2align	8
	.type	_ZN4vllm30reshape_and_cache_flash_kernelIttLNS_18Fp8KVCacheDataTypeE0EEEvPKT_S4_PT0_S6_PKlllllliiiPKfSA_i,@function
_ZN4vllm30reshape_and_cache_flash_kernelIttLNS_18Fp8KVCacheDataTypeE0EEEvPKT_S4_PT0_S6_PKlllllliiiPKfSA_i: ; @_ZN4vllm30reshape_and_cache_flash_kernelIttLNS_18Fp8KVCacheDataTypeE0EEEvPKT_S4_PT0_S6_PKlllllliiiPKfSA_i
; %bb.0:
	s_load_dwordx2 s[4:5], s[0:1], 0x20
	s_mov_b32 s3, 0
	s_lshl_b64 s[6:7], s[2:3], 3
	s_waitcnt lgkmcnt(0)
	s_add_u32 s4, s4, s6
	s_addc_u32 s5, s5, s7
	s_load_dwordx2 s[24:25], s[4:5], 0x0
	s_waitcnt lgkmcnt(0)
	v_cmp_lt_i64_e64 s[4:5], s[24:25], 0
	s_and_b64 vcc, exec, s[4:5]
	s_cbranch_vccnz .LBB8_91
; %bb.1:
	s_load_dwordx4 s[20:23], s[0:1], 0x50
	s_load_dwordx8 s[12:19], s[0:1], 0x0
	s_waitcnt lgkmcnt(0)
	s_ashr_i32 s23, s22, 31
	s_or_b64 s[4:5], s[24:25], s[22:23]
	s_mov_b32 s4, s3
	s_cmp_lg_u64 s[4:5], 0
	s_cbranch_scc0 .LBB8_92
; %bb.2:
	s_add_u32 s4, s22, s23
	s_mov_b32 s8, s23
	s_mov_b32 s9, s23
	s_addc_u32 s5, s23, s23
	s_xor_b64 s[10:11], s[4:5], s[8:9]
	v_cvt_f32_u32_e32 v1, s10
	v_cvt_f32_u32_e32 v2, s11
	s_sub_u32 s3, 0, s10
	s_subb_u32 s4, 0, s11
	v_fmamk_f32 v1, v2, 0x4f800000, v1
	v_rcp_f32_e32 v1, v1
	s_nop 0
	v_mul_f32_e32 v1, 0x5f7ffffc, v1
	v_mul_f32_e32 v2, 0x2f800000, v1
	v_trunc_f32_e32 v2, v2
	v_fmamk_f32 v1, v2, 0xcf800000, v1
	v_cvt_u32_f32_e32 v2, v2
	v_cvt_u32_f32_e32 v1, v1
	v_readfirstlane_b32 s5, v2
	v_readfirstlane_b32 s26, v1
	s_mul_i32 s27, s3, s5
	s_mul_hi_u32 s29, s3, s26
	s_mul_i32 s28, s4, s26
	s_add_i32 s27, s29, s27
	s_add_i32 s27, s27, s28
	s_mul_i32 s30, s3, s26
	s_mul_hi_u32 s28, s26, s27
	s_mul_i32 s29, s26, s27
	s_mul_hi_u32 s26, s26, s30
	s_add_u32 s26, s26, s29
	s_addc_u32 s28, 0, s28
	s_mul_hi_u32 s31, s5, s30
	s_mul_i32 s30, s5, s30
	s_add_u32 s26, s26, s30
	s_mul_hi_u32 s29, s5, s27
	s_addc_u32 s26, s28, s31
	s_addc_u32 s28, s29, 0
	s_mul_i32 s27, s5, s27
	s_add_u32 s26, s26, s27
	s_addc_u32 s27, 0, s28
	v_add_co_u32_e32 v1, vcc, s26, v1
	s_cmp_lg_u64 vcc, 0
	s_addc_u32 s5, s5, s27
	v_readfirstlane_b32 s27, v1
	s_mul_i32 s26, s3, s5
	s_mul_hi_u32 s28, s3, s27
	s_add_i32 s26, s28, s26
	s_mul_i32 s4, s4, s27
	s_add_i32 s26, s26, s4
	s_mul_i32 s3, s3, s27
	s_mul_hi_u32 s28, s5, s3
	s_mul_i32 s29, s5, s3
	s_mul_i32 s31, s27, s26
	s_mul_hi_u32 s3, s27, s3
	s_mul_hi_u32 s30, s27, s26
	s_add_u32 s3, s3, s31
	s_addc_u32 s27, 0, s30
	s_add_u32 s3, s3, s29
	s_mul_hi_u32 s4, s5, s26
	s_addc_u32 s3, s27, s28
	s_addc_u32 s4, s4, 0
	s_mul_i32 s26, s5, s26
	s_add_u32 s3, s3, s26
	s_addc_u32 s4, 0, s4
	v_add_co_u32_e32 v1, vcc, s3, v1
	s_cmp_lg_u64 vcc, 0
	s_addc_u32 s3, s5, s4
	s_ashr_i32 s26, s25, 31
	s_add_u32 s4, s24, s26
	s_mov_b32 s27, s26
	s_addc_u32 s5, s25, s26
	s_xor_b64 s[28:29], s[4:5], s[26:27]
	v_readfirstlane_b32 s30, v1
	s_mul_i32 s5, s28, s3
	s_mul_hi_u32 s31, s28, s30
	s_mul_hi_u32 s4, s28, s3
	s_add_u32 s5, s31, s5
	s_addc_u32 s4, 0, s4
	s_mul_hi_u32 s33, s29, s30
	s_mul_i32 s30, s29, s30
	s_add_u32 s5, s5, s30
	s_mul_hi_u32 s31, s29, s3
	s_addc_u32 s4, s4, s33
	s_addc_u32 s5, s31, 0
	s_mul_i32 s3, s29, s3
	s_add_u32 s3, s4, s3
	s_addc_u32 s30, 0, s5
	s_mul_i32 s4, s10, s30
	s_mul_hi_u32 s5, s10, s3
	s_add_i32 s4, s5, s4
	s_mul_i32 s5, s11, s3
	s_add_i32 s31, s4, s5
	s_mul_i32 s5, s10, s3
	v_mov_b32_e32 v1, s5
	s_sub_i32 s4, s29, s31
	v_sub_co_u32_e32 v1, vcc, s28, v1
	s_cmp_lg_u64 vcc, 0
	s_subb_u32 s28, s4, s11
	v_subrev_co_u32_e64 v2, s[4:5], s10, v1
	s_cmp_lg_u64 s[4:5], 0
	s_subb_u32 s4, s28, 0
	s_cmp_ge_u32 s4, s11
	v_readfirstlane_b32 s28, v2
	s_cselect_b32 s5, -1, 0
	s_cmp_ge_u32 s28, s10
	s_cselect_b32 s28, -1, 0
	s_cmp_eq_u32 s4, s11
	s_cselect_b32 s4, s28, s5
	s_add_u32 s5, s3, 1
	s_addc_u32 s28, s30, 0
	s_add_u32 s33, s3, 2
	s_addc_u32 s34, s30, 0
	s_cmp_lg_u32 s4, 0
	s_cselect_b32 s4, s33, s5
	s_cselect_b32 s5, s34, s28
	s_cmp_lg_u64 vcc, 0
	s_subb_u32 s28, s29, s31
	s_cmp_ge_u32 s28, s11
	v_readfirstlane_b32 s31, v1
	s_cselect_b32 s29, -1, 0
	s_cmp_ge_u32 s31, s10
	s_cselect_b32 s10, -1, 0
	s_cmp_eq_u32 s28, s11
	s_cselect_b32 s10, s10, s29
	s_cmp_lg_u32 s10, 0
	s_cselect_b32 s5, s5, s30
	s_cselect_b32 s4, s4, s3
	s_xor_b64 s[8:9], s[26:27], s[8:9]
	s_xor_b64 s[4:5], s[4:5], s[8:9]
	s_sub_u32 s28, s4, s8
	s_subb_u32 s29, s5, s9
	s_cbranch_execnz .LBB8_4
.LBB8_3:
	v_cvt_f32_u32_e32 v1, s22
	s_sub_i32 s3, 0, s22
	s_mov_b32 s29, 0
	v_rcp_iflag_f32_e32 v1, v1
	s_nop 0
	v_mul_f32_e32 v1, 0x4f7ffffe, v1
	v_cvt_u32_f32_e32 v1, v1
	s_nop 0
	v_readfirstlane_b32 s4, v1
	s_mul_i32 s3, s3, s4
	s_mul_hi_u32 s3, s4, s3
	s_add_i32 s4, s4, s3
	s_mul_hi_u32 s3, s24, s4
	s_mul_i32 s5, s3, s22
	s_sub_i32 s5, s24, s5
	s_add_i32 s4, s3, 1
	s_sub_i32 s6, s5, s22
	s_cmp_ge_u32 s5, s22
	s_cselect_b32 s3, s4, s3
	s_cselect_b32 s5, s6, s5
	s_add_i32 s4, s3, 1
	s_cmp_ge_u32 s5, s22
	s_cselect_b32 s28, s4, s3
.LBB8_4:
	s_load_dwordx8 s[4:11], s[0:1], 0x28
	s_mul_i32 s3, s28, s23
	s_mul_hi_u32 s23, s28, s22
	s_add_i32 s3, s23, s3
	s_mul_i32 s23, s29, s22
	s_add_i32 s3, s3, s23
	s_mul_i32 s22, s28, s22
	s_sub_u32 s30, s24, s22
	s_load_dwordx2 s[22:23], s[0:1], 0x48
	s_subb_u32 s31, s25, s3
	s_waitcnt lgkmcnt(0)
	s_mul_i32 s3, s2, s11
	s_mul_hi_u32 s11, s2, s10
	s_add_i32 s11, s11, s3
	s_mul_i32 s10, s2, s10
	s_lshl_b64 s[26:27], s[10:11], 1
	s_add_u32 s10, s12, s26
	s_load_dword s33, s[0:1], 0x70
	s_load_dword s34, s[0:1], 0x84
	s_mul_i32 s0, s2, s23
	s_mul_hi_u32 s1, s2, s22
	s_addc_u32 s11, s13, s27
	s_add_i32 s1, s1, s0
	s_mul_i32 s0, s2, s22
	s_lshl_b64 s[0:1], s[0:1], 1
	s_add_u32 s2, s14, s0
	s_mul_i32 s5, s28, s5
	s_mul_hi_u32 s22, s28, s4
	s_addc_u32 s3, s15, s1
	s_add_i32 s5, s22, s5
	s_mul_i32 s22, s29, s4
	s_add_i32 s5, s5, s22
	s_mul_i32 s4, s28, s4
	s_lshl_b64 s[24:25], s[4:5], 1
	s_add_u32 s22, s16, s24
	s_mul_i32 s4, s30, s7
	s_mul_hi_u32 s5, s30, s6
	s_addc_u32 s23, s17, s25
	s_add_i32 s4, s5, s4
	s_mul_i32 s31, s31, s6
	s_add_i32 s5, s4, s31
	s_mul_i32 s4, s30, s6
	s_lshl_b64 s[28:29], s[4:5], 1
	s_add_u32 s6, s22, s28
	s_addc_u32 s7, s23, s29
	s_add_u32 s4, s18, s24
	s_addc_u32 s5, s19, s25
	;; [unrolled: 2-line block ×3, first 2 shown]
	s_ashr_i32 s23, s21, 31
	s_mov_b32 s22, s21
	s_cmp_lg_u64 s[22:23], s[8:9]
	s_cselect_b64 s[22:23], -1, 0
	s_waitcnt lgkmcnt(0)
	s_cmp_lg_u32 s33, 0
	s_cselect_b64 s[30:31], -1, 0
	s_or_b64 s[30:31], s[22:23], s[30:31]
	s_and_b32 s33, s34, 0xffff
	s_mov_b64 s[22:23], -1
	s_and_b64 vcc, exec, s[30:31]
	s_cbranch_vccz .LBB8_49
; %bb.5:
	v_lshrrev_b32_e32 v1, 5, v0
	v_cmp_gt_i32_e32 vcc, s20, v1
	s_and_saveexec_b64 s[22:23], vcc
	s_cbranch_execz .LBB8_48
; %bb.6:
	s_lshr_b32 s38, s33, 5
	s_and_b32 s30, s21, 7
	s_cmp_eq_u32 s30, 0
	v_mad_u64_u32 v[2:3], s[34:35], s8, v1, 0
	s_cselect_b64 s[30:31], -1, 0
	s_ashr_i32 s39, s21, 3
	v_mov_b32_e32 v4, v3
	v_mad_u64_u32 v[4:5], s[34:35], s9, v1, v[4:5]
	s_add_u32 s24, s28, s24
	v_mov_b32_e32 v3, v4
	s_addc_u32 s25, s29, s25
	v_lshl_add_u64 v[2:3], v[2:3], 1, s[24:25]
	s_mul_i32 s24, s9, s38
	s_mul_hi_u32 s25, s8, s38
	s_add_i32 s25, s25, s24
	s_mul_i32 s24, s8, s38
	s_lshl_b64 s[24:25], s[24:25], 1
	v_and_b32_e32 v8, 31, v0
	s_add_u32 s12, s12, s26
	v_mov_b32_e32 v11, 0
	v_lshlrev_b32_e32 v10, 4, v8
	s_addc_u32 s13, s13, s27
	v_lshl_add_u64 v[4:5], v[2:3], 0, v[10:11]
	s_add_u32 s14, s14, s0
	v_lshl_add_u64 v[4:5], v[4:5], 0, 8
	s_addc_u32 s15, s15, s1
	v_lshl_add_u64 v[12:13], s[16:17], 0, v[4:5]
	v_lshl_add_u64 v[6:7], s[12:13], 0, v[10:11]
	v_lshl_add_u64 v[20:21], s[18:19], 0, v[4:5]
	v_lshl_add_u64 v[4:5], s[14:15], 0, v[10:11]
	v_cmp_gt_i32_e32 vcc, s39, v8
	v_not_b32_e32 v9, v8
	v_or_b32_e32 v40, 32, v8
	v_lshl_add_u64 v[14:15], v[6:7], 0, 8
	v_mul_lo_u32 v16, s21, v1
	s_mul_i32 s40, s21, s38
	v_lshl_add_u64 v[18:19], s[16:17], 0, v[2:3]
	v_lshl_add_u64 v[22:23], v[4:5], 0, 8
	;; [unrolled: 1-line block ×3, first 2 shown]
	s_mov_b64 s[16:17], 0
	s_xor_b64 s[18:19], s[30:31], -1
	s_mov_b64 s[26:27], 0x200
	s_movk_i32 s41, 0x5f
	v_lshlrev_b32_e32 v26, 1, v8
	s_branch .LBB8_9
.LBB8_7:                                ;   in Loop: Header=BB8_9 Depth=1
	s_or_b64 exec, exec, s[30:31]
.LBB8_8:                                ;   in Loop: Header=BB8_9 Depth=1
	s_or_b64 exec, exec, s[28:29]
	v_add_u32_e32 v1, s38, v1
	v_cmp_le_i32_e64 s[0:1], s20, v1
	v_lshl_add_u64 v[12:13], v[12:13], 0, s[24:25]
	v_add_u32_e32 v16, s40, v16
	v_lshl_add_u64 v[18:19], v[18:19], 0, s[24:25]
	v_lshl_add_u64 v[20:21], v[20:21], 0, s[24:25]
	s_or_b64 s[16:17], s[0:1], s[16:17]
	v_lshl_add_u64 v[24:25], v[24:25], 0, s[24:25]
	s_andn2_b64 exec, exec, s[16:17]
	s_cbranch_execz .LBB8_48
.LBB8_9:                                ; =>This Loop Header: Depth=1
                                        ;     Child Loop BB8_14 Depth 2
                                        ;     Child Loop BB8_18 Depth 2
	;; [unrolled: 1-line block ×8, first 2 shown]
	v_mul_lo_u32 v32, v1, s21
	v_ashrrev_i32_e32 v33, 31, v32
	v_mad_u64_u32 v[30:31], s[0:1], v1, s8, 0
	v_lshl_add_u64 v[4:5], v[32:33], 1, s[10:11]
	v_mov_b32_e32 v2, v31
	v_mad_u64_u32 v[2:3], s[0:1], v1, s9, v[2:3]
	v_and_b32_e32 v10, 15, v4
	v_ashrrev_i32_e32 v17, 31, v16
	v_cmp_ne_u64_e64 s[0:1], 0, v[10:11]
	v_lshlrev_b64 v[28:29], 1, v[16:17]
	v_mov_b32_e32 v31, v2
	s_or_b64 s[0:1], s[18:19], s[0:1]
	s_and_saveexec_b64 s[28:29], s[0:1]
	s_xor_b64 s[28:29], exec, s[28:29]
	s_cbranch_execz .LBB8_24
; %bb.10:                               ;   in Loop: Header=BB8_9 Depth=1
	v_sub_u32_e32 v2, 0, v4
	v_bfe_u32 v2, v2, 1, 3
	v_min_i32_e32 v34, s21, v2
	v_lshl_add_u64 v[6:7], v[30:31], 1, s[6:7]
	v_cmp_gt_i32_e64 s[0:1], v34, v8
	s_and_saveexec_b64 s[30:31], s[0:1]
	s_cbranch_execz .LBB8_12
; %bb.11:                               ;   in Loop: Header=BB8_9 Depth=1
	v_mov_b32_e32 v27, v11
	v_lshl_add_u64 v[2:3], v[4:5], 0, v[26:27]
	global_load_ushort v10, v[2:3], off
	v_lshl_add_u64 v[2:3], v[6:7], 0, v[26:27]
	s_waitcnt vmcnt(0)
	global_store_short v[2:3], v10, off
.LBB8_12:                               ;   in Loop: Header=BB8_9 Depth=1
	s_or_b64 exec, exec, s[30:31]
	v_sub_u32_e32 v10, s21, v34
	v_ashrrev_i32_e32 v2, 31, v10
	v_lshrrev_b32_e32 v2, 29, v2
	v_add_u32_e32 v2, v10, v2
	v_ashrrev_i32_e32 v17, 3, v2
	v_ashrrev_i32_e32 v35, 31, v34
	v_cmp_gt_i32_e64 s[0:1], v17, v8
	s_and_saveexec_b64 s[30:31], s[0:1]
	s_cbranch_execz .LBB8_15
; %bb.13:                               ;   in Loop: Header=BB8_9 Depth=1
	v_lshlrev_b64 v[36:37], 1, v[34:35]
	v_lshl_add_u64 v[2:3], v[12:13], 0, v[36:37]
	v_lshl_add_u64 v[36:37], v[36:37], 0, v[28:29]
	;; [unrolled: 1-line block ×3, first 2 shown]
	s_mov_b64 s[34:35], 0
	v_mov_b32_e32 v27, v8
.LBB8_14:                               ;   Parent Loop BB8_9 Depth=1
                                        ; =>  This Inner Loop Header: Depth=2
	global_load_dwordx4 v[42:45], v[36:37], off offset:-8
	v_add_u32_e32 v27, 32, v27
	v_cmp_ge_i32_e64 s[0:1], v27, v17
	v_lshl_add_u64 v[36:37], v[36:37], 0, s[26:27]
	s_or_b64 s[34:35], s[0:1], s[34:35]
	s_waitcnt vmcnt(0)
	global_store_dwordx4 v[2:3], v[42:45], off offset:-8
	v_lshl_add_u64 v[2:3], v[2:3], 0, s[26:27]
	s_andn2_b64 exec, exec, s[34:35]
	s_cbranch_execnz .LBB8_14
.LBB8_15:                               ;   in Loop: Header=BB8_9 Depth=1
	s_or_b64 exec, exec, s[30:31]
	v_lshlrev_b32_e32 v3, 3, v17
	v_add_u32_e32 v2, v3, v8
	v_cmp_lt_i32_e64 s[0:1], v2, v10
	s_and_saveexec_b64 s[30:31], s[0:1]
	s_cbranch_execz .LBB8_23
; %bb.16:                               ;   in Loop: Header=BB8_9 Depth=1
	v_add_u32_e32 v17, v40, v3
	v_max_i32_e32 v17, v17, v10
	v_add_u32_e32 v17, v17, v9
	v_sub_u32_e32 v3, v17, v3
	v_cmp_lt_u32_e64 s[0:1], s41, v3
	s_mov_b64 s[36:37], -1
	s_and_saveexec_b64 s[34:35], s[0:1]
	s_cbranch_execz .LBB8_20
; %bb.17:                               ;   in Loop: Header=BB8_9 Depth=1
	v_lshrrev_b32_e32 v3, 5, v3
	v_lshlrev_b64 v[38:39], 1, v[34:35]
	v_add_u32_e32 v17, 1, v3
	v_lshl_add_u64 v[36:37], v[4:5], 0, v[38:39]
	v_add_u32_e32 v5, 0x60, v2
	v_add_u32_e32 v4, 64, v2
	v_lshl_add_u64 v[38:39], v[6:7], 0, v[38:39]
	v_and_b32_e32 v27, 0xffffffc, v17
	v_add_u32_e32 v3, 32, v2
	v_mov_b64_e32 v[6:7], v[4:5]
	s_mov_b64 s[36:37], 0
	v_mov_b32_e32 v41, v27
	v_mov_b64_e32 v[4:5], v[2:3]
.LBB8_18:                               ;   Parent Loop BB8_9 Depth=1
                                        ; =>  This Inner Loop Header: Depth=2
	v_ashrrev_i32_e32 v49, 31, v4
	v_mov_b32_e32 v48, v4
	v_ashrrev_i32_e32 v43, 31, v7
	v_mov_b32_e32 v42, v7
	;; [unrolled: 2-line block ×4, first 2 shown]
	v_lshlrev_b64 v[48:49], 1, v[48:49]
	v_lshlrev_b64 v[46:47], 1, v[46:47]
	;; [unrolled: 1-line block ×4, first 2 shown]
	v_lshl_add_u64 v[50:51], v[36:37], 0, v[48:49]
	v_lshl_add_u64 v[52:53], v[36:37], 0, v[46:47]
	;; [unrolled: 1-line block ×4, first 2 shown]
	global_load_ushort v3, v[50:51], off
	global_load_ushort v58, v[52:53], off
	;; [unrolled: 1-line block ×4, first 2 shown]
	v_add_u32_e32 v41, -4, v41
	v_cmp_eq_u32_e64 s[0:1], 0, v41
	v_add_u32_e32 v7, 0x80, v7
	v_add_u32_e32 v6, 0x80, v6
	;; [unrolled: 1-line block ×4, first 2 shown]
	v_lshl_add_u64 v[48:49], v[38:39], 0, v[48:49]
	s_or_b64 s[36:37], s[0:1], s[36:37]
	v_lshl_add_u64 v[46:47], v[38:39], 0, v[46:47]
	v_lshl_add_u64 v[44:45], v[38:39], 0, v[44:45]
	;; [unrolled: 1-line block ×3, first 2 shown]
	s_waitcnt vmcnt(3)
	global_store_short v[48:49], v3, off
	s_waitcnt vmcnt(3)
	global_store_short v[46:47], v58, off
	;; [unrolled: 2-line block ×4, first 2 shown]
	s_andn2_b64 exec, exec, s[36:37]
	s_cbranch_execnz .LBB8_18
; %bb.19:                               ;   in Loop: Header=BB8_9 Depth=1
	s_or_b64 exec, exec, s[36:37]
	v_cmp_ne_u32_e64 s[0:1], v17, v27
	v_lshl_add_u32 v2, v27, 5, v2
	s_orn2_b64 s[36:37], s[0:1], exec
.LBB8_20:                               ;   in Loop: Header=BB8_9 Depth=1
	s_or_b64 exec, exec, s[34:35]
	s_and_b64 exec, exec, s[36:37]
	s_cbranch_execz .LBB8_23
; %bb.21:                               ;   in Loop: Header=BB8_9 Depth=1
	v_ashrrev_i32_e32 v3, 31, v2
	v_lshlrev_b64 v[4:5], 1, v[2:3]
	v_lshl_add_u64 v[6:7], v[34:35], 1, v[4:5]
	v_lshl_add_u64 v[4:5], v[6:7], 0, v[28:29]
	;; [unrolled: 1-line block ×4, first 2 shown]
	s_mov_b64 s[34:35], 0
.LBB8_22:                               ;   Parent Loop BB8_9 Depth=1
                                        ; =>  This Inner Loop Header: Depth=2
	global_load_ushort v3, v[4:5], off
	v_add_u32_e32 v2, 32, v2
	v_cmp_ge_i32_e64 s[0:1], v2, v10
	v_lshl_add_u64 v[4:5], v[4:5], 0, 64
	s_or_b64 s[34:35], s[0:1], s[34:35]
	s_waitcnt vmcnt(0)
	global_store_short v[6:7], v3, off
	v_lshl_add_u64 v[6:7], v[6:7], 0, 64
	s_andn2_b64 exec, exec, s[34:35]
	s_cbranch_execnz .LBB8_22
.LBB8_23:                               ;   in Loop: Header=BB8_9 Depth=1
	s_or_b64 exec, exec, s[30:31]
.LBB8_24:                               ;   in Loop: Header=BB8_9 Depth=1
	s_andn2_saveexec_b64 s[28:29], s[28:29]
	s_cbranch_execz .LBB8_29
; %bb.25:                               ;   in Loop: Header=BB8_9 Depth=1
	s_and_saveexec_b64 s[30:31], vcc
	s_cbranch_execz .LBB8_28
; %bb.26:                               ;   in Loop: Header=BB8_9 Depth=1
	v_lshl_add_u64 v[2:3], v[14:15], 0, v[28:29]
	s_mov_b64 s[34:35], 0
	s_mov_b64 s[36:37], 0
	v_mov_b32_e32 v4, v8
.LBB8_27:                               ;   Parent Loop BB8_9 Depth=1
                                        ; =>  This Inner Loop Header: Depth=2
	v_lshl_add_u64 v[6:7], v[2:3], 0, s[36:37]
	global_load_dwordx4 v[34:37], v[6:7], off offset:-8
	v_lshl_add_u64 v[6:7], v[12:13], 0, s[36:37]
	v_add_u32_e32 v4, 32, v4
	s_add_u32 s36, s36, 0x200
	s_addc_u32 s37, s37, 0
	v_cmp_le_i32_e64 s[0:1], s39, v4
	s_or_b64 s[34:35], s[0:1], s[34:35]
	s_waitcnt vmcnt(0)
	global_store_dwordx4 v[6:7], v[34:37], off offset:-8
	s_andn2_b64 exec, exec, s[34:35]
	s_cbranch_execnz .LBB8_27
.LBB8_28:                               ;   in Loop: Header=BB8_9 Depth=1
	s_or_b64 exec, exec, s[30:31]
.LBB8_29:                               ;   in Loop: Header=BB8_9 Depth=1
	s_or_b64 exec, exec, s[28:29]
	v_lshl_add_u64 v[4:5], v[32:33], 1, s[2:3]
	v_and_b32_e32 v10, 15, v4
	v_cmp_ne_u64_e64 s[0:1], 0, v[10:11]
	s_or_b64 s[0:1], s[18:19], s[0:1]
	s_and_saveexec_b64 s[28:29], s[0:1]
	s_xor_b64 s[28:29], exec, s[28:29]
	s_cbranch_execz .LBB8_44
; %bb.30:                               ;   in Loop: Header=BB8_9 Depth=1
	v_sub_u32_e32 v2, 0, v4
	v_bfe_u32 v2, v2, 1, 3
	v_lshl_add_u64 v[6:7], v[30:31], 1, s[4:5]
	v_min_i32_e32 v30, s21, v2
	v_cmp_gt_i32_e64 s[0:1], v30, v8
	s_and_saveexec_b64 s[30:31], s[0:1]
	s_cbranch_execz .LBB8_32
; %bb.31:                               ;   in Loop: Header=BB8_9 Depth=1
	v_mov_b32_e32 v27, v11
	v_lshl_add_u64 v[2:3], v[4:5], 0, v[26:27]
	global_load_ushort v10, v[2:3], off
	v_lshl_add_u64 v[2:3], v[6:7], 0, v[26:27]
	s_waitcnt vmcnt(0)
	global_store_short v[2:3], v10, off
.LBB8_32:                               ;   in Loop: Header=BB8_9 Depth=1
	s_or_b64 exec, exec, s[30:31]
	v_sub_u32_e32 v10, s21, v30
	v_ashrrev_i32_e32 v2, 31, v10
	v_lshrrev_b32_e32 v2, 29, v2
	v_add_u32_e32 v2, v10, v2
	v_ashrrev_i32_e32 v17, 3, v2
	v_ashrrev_i32_e32 v31, 31, v30
	v_cmp_gt_i32_e64 s[0:1], v17, v8
	s_and_saveexec_b64 s[30:31], s[0:1]
	s_cbranch_execz .LBB8_35
; %bb.33:                               ;   in Loop: Header=BB8_9 Depth=1
	v_lshlrev_b64 v[32:33], 1, v[30:31]
	v_lshl_add_u64 v[2:3], v[20:21], 0, v[32:33]
	v_lshl_add_u64 v[32:33], v[32:33], 0, v[28:29]
	;; [unrolled: 1-line block ×3, first 2 shown]
	s_mov_b64 s[34:35], 0
	v_mov_b32_e32 v27, v8
.LBB8_34:                               ;   Parent Loop BB8_9 Depth=1
                                        ; =>  This Inner Loop Header: Depth=2
	global_load_dwordx4 v[34:37], v[32:33], off offset:-8
	v_add_u32_e32 v27, 32, v27
	v_cmp_ge_i32_e64 s[0:1], v27, v17
	v_lshl_add_u64 v[32:33], v[32:33], 0, s[26:27]
	s_or_b64 s[34:35], s[0:1], s[34:35]
	s_waitcnt vmcnt(0)
	global_store_dwordx4 v[2:3], v[34:37], off offset:-8
	v_lshl_add_u64 v[2:3], v[2:3], 0, s[26:27]
	s_andn2_b64 exec, exec, s[34:35]
	s_cbranch_execnz .LBB8_34
.LBB8_35:                               ;   in Loop: Header=BB8_9 Depth=1
	s_or_b64 exec, exec, s[30:31]
	v_lshlrev_b32_e32 v3, 3, v17
	v_add_u32_e32 v2, v3, v8
	v_cmp_lt_i32_e64 s[0:1], v2, v10
	s_and_saveexec_b64 s[30:31], s[0:1]
	s_cbranch_execz .LBB8_43
; %bb.36:                               ;   in Loop: Header=BB8_9 Depth=1
	v_add_u32_e32 v17, v40, v3
	v_max_i32_e32 v17, v17, v10
	v_add_u32_e32 v17, v17, v9
	v_sub_u32_e32 v3, v17, v3
	v_cmp_lt_u32_e64 s[0:1], s41, v3
	s_mov_b64 s[36:37], -1
	s_and_saveexec_b64 s[34:35], s[0:1]
	s_cbranch_execz .LBB8_40
; %bb.37:                               ;   in Loop: Header=BB8_9 Depth=1
	v_lshrrev_b32_e32 v3, 5, v3
	v_lshlrev_b64 v[34:35], 1, v[30:31]
	v_add_u32_e32 v17, 1, v3
	v_lshl_add_u64 v[32:33], v[4:5], 0, v[34:35]
	v_add_u32_e32 v5, 0x60, v2
	v_add_u32_e32 v4, 64, v2
	v_lshl_add_u64 v[34:35], v[6:7], 0, v[34:35]
	v_and_b32_e32 v27, 0xffffffc, v17
	v_add_u32_e32 v3, 32, v2
	v_mov_b64_e32 v[6:7], v[4:5]
	s_mov_b64 s[36:37], 0
	v_mov_b32_e32 v36, v27
	v_mov_b64_e32 v[4:5], v[2:3]
.LBB8_38:                               ;   Parent Loop BB8_9 Depth=1
                                        ; =>  This Inner Loop Header: Depth=2
	v_ashrrev_i32_e32 v47, 31, v4
	v_mov_b32_e32 v46, v4
	v_ashrrev_i32_e32 v39, 31, v7
	v_mov_b32_e32 v38, v7
	;; [unrolled: 2-line block ×4, first 2 shown]
	v_lshlrev_b64 v[46:47], 1, v[46:47]
	v_lshlrev_b64 v[44:45], 1, v[44:45]
	;; [unrolled: 1-line block ×4, first 2 shown]
	v_lshl_add_u64 v[48:49], v[32:33], 0, v[46:47]
	v_lshl_add_u64 v[50:51], v[32:33], 0, v[44:45]
	;; [unrolled: 1-line block ×4, first 2 shown]
	global_load_ushort v3, v[48:49], off
	global_load_ushort v37, v[50:51], off
	;; [unrolled: 1-line block ×4, first 2 shown]
	v_add_u32_e32 v36, -4, v36
	v_cmp_eq_u32_e64 s[0:1], 0, v36
	v_add_u32_e32 v7, 0x80, v7
	v_add_u32_e32 v6, 0x80, v6
	v_add_u32_e32 v5, 0x80, v5
	v_add_u32_e32 v4, 0x80, v4
	v_lshl_add_u64 v[46:47], v[34:35], 0, v[46:47]
	s_or_b64 s[36:37], s[0:1], s[36:37]
	v_lshl_add_u64 v[44:45], v[34:35], 0, v[44:45]
	v_lshl_add_u64 v[42:43], v[34:35], 0, v[42:43]
	;; [unrolled: 1-line block ×3, first 2 shown]
	s_waitcnt vmcnt(3)
	global_store_short v[46:47], v3, off
	s_waitcnt vmcnt(3)
	global_store_short v[44:45], v37, off
	;; [unrolled: 2-line block ×4, first 2 shown]
	s_andn2_b64 exec, exec, s[36:37]
	s_cbranch_execnz .LBB8_38
; %bb.39:                               ;   in Loop: Header=BB8_9 Depth=1
	s_or_b64 exec, exec, s[36:37]
	v_cmp_ne_u32_e64 s[0:1], v17, v27
	v_lshl_add_u32 v2, v27, 5, v2
	s_orn2_b64 s[36:37], s[0:1], exec
.LBB8_40:                               ;   in Loop: Header=BB8_9 Depth=1
	s_or_b64 exec, exec, s[34:35]
	s_and_b64 exec, exec, s[36:37]
	s_cbranch_execz .LBB8_43
; %bb.41:                               ;   in Loop: Header=BB8_9 Depth=1
	v_ashrrev_i32_e32 v3, 31, v2
	v_lshlrev_b64 v[4:5], 1, v[2:3]
	v_lshl_add_u64 v[6:7], v[30:31], 1, v[4:5]
	v_lshl_add_u64 v[4:5], v[6:7], 0, v[28:29]
	;; [unrolled: 1-line block ×4, first 2 shown]
	s_mov_b64 s[34:35], 0
.LBB8_42:                               ;   Parent Loop BB8_9 Depth=1
                                        ; =>  This Inner Loop Header: Depth=2
	global_load_ushort v3, v[4:5], off
	v_add_u32_e32 v2, 32, v2
	v_cmp_ge_i32_e64 s[0:1], v2, v10
	v_lshl_add_u64 v[4:5], v[4:5], 0, 64
	s_or_b64 s[34:35], s[0:1], s[34:35]
	s_waitcnt vmcnt(0)
	global_store_short v[6:7], v3, off
	v_lshl_add_u64 v[6:7], v[6:7], 0, 64
	s_andn2_b64 exec, exec, s[34:35]
	s_cbranch_execnz .LBB8_42
.LBB8_43:                               ;   in Loop: Header=BB8_9 Depth=1
	s_or_b64 exec, exec, s[30:31]
                                        ; implicit-def: $vgpr28_vgpr29
.LBB8_44:                               ;   in Loop: Header=BB8_9 Depth=1
	s_andn2_saveexec_b64 s[28:29], s[28:29]
	s_cbranch_execz .LBB8_8
; %bb.45:                               ;   in Loop: Header=BB8_9 Depth=1
	s_and_saveexec_b64 s[30:31], vcc
	s_cbranch_execz .LBB8_7
; %bb.46:                               ;   in Loop: Header=BB8_9 Depth=1
	v_lshl_add_u64 v[2:3], v[22:23], 0, v[28:29]
	s_mov_b64 s[34:35], 0
	s_mov_b64 s[36:37], 0
	v_mov_b32_e32 v4, v8
.LBB8_47:                               ;   Parent Loop BB8_9 Depth=1
                                        ; =>  This Inner Loop Header: Depth=2
	v_lshl_add_u64 v[6:7], v[2:3], 0, s[36:37]
	global_load_dwordx4 v[28:31], v[6:7], off offset:-8
	v_lshl_add_u64 v[6:7], v[20:21], 0, s[36:37]
	v_add_u32_e32 v4, 32, v4
	s_add_u32 s36, s36, 0x200
	s_addc_u32 s37, s37, 0
	v_cmp_le_i32_e64 s[0:1], s39, v4
	s_or_b64 s[34:35], s[0:1], s[34:35]
	s_waitcnt vmcnt(0)
	global_store_dwordx4 v[6:7], v[28:31], off offset:-8
	s_andn2_b64 exec, exec, s[34:35]
	s_cbranch_execnz .LBB8_47
	s_branch .LBB8_7
.LBB8_48:
	s_or_b64 exec, exec, s[22:23]
	s_mov_b64 s[22:23], 0
.LBB8_49:
	s_andn2_b64 vcc, exec, s[22:23]
	s_cbranch_vccnz .LBB8_91
; %bb.50:
	s_and_b32 s0, s10, 15
	s_mov_b32 s1, 0
	s_mul_i32 s22, s21, s20
	s_cmp_lg_u64 s[0:1], 0
	s_cselect_b64 s[0:1], -1, 0
	s_and_b32 s12, s22, 7
	s_cmp_eq_u32 s12, 0
	s_cselect_b64 s[8:9], -1, 0
	s_cmp_lg_u32 s12, 0
	s_cselect_b64 s[12:13], -1, 0
	s_or_b64 s[12:13], s[0:1], s[12:13]
	s_mov_b64 s[0:1], -1
	s_and_b64 vcc, exec, s[12:13]
	s_cbranch_vccz .LBB8_66
; %bb.51:
	s_sub_i32 s0, 0, s10
	s_bfe_u32 s0, s0, 0x30001
	s_min_i32 s12, s0, s22
	v_cmp_gt_i32_e32 vcc, s12, v0
	s_and_saveexec_b64 s[0:1], vcc
	s_cbranch_execz .LBB8_54
; %bb.52:
	v_lshlrev_b32_e32 v2, 1, v0
	s_mov_b32 s15, 0
	v_mov_b32_e32 v3, 0
	s_lshl_b32 s14, s33, 1
	s_mov_b64 s[16:17], 0
	v_mov_b32_e32 v1, v0
.LBB8_53:                               ; =>This Inner Loop Header: Depth=1
	v_lshl_add_u64 v[4:5], s[10:11], 0, v[2:3]
	global_load_ushort v6, v[4:5], off
	v_add_u32_e32 v1, s33, v1
	v_cmp_le_i32_e32 vcc, s12, v1
	v_lshl_add_u64 v[4:5], s[6:7], 0, v[2:3]
	v_lshl_add_u64 v[2:3], v[2:3], 0, s[14:15]
	s_or_b64 s[16:17], vcc, s[16:17]
	s_waitcnt vmcnt(0)
	global_store_short v[4:5], v6, off
	s_andn2_b64 exec, exec, s[16:17]
	s_cbranch_execnz .LBB8_53
.LBB8_54:
	s_or_b64 exec, exec, s[0:1]
	s_sub_i32 s23, s22, s12
	s_ashr_i32 s0, s23, 31
	s_lshr_b32 s0, s0, 29
	s_add_i32 s0, s23, s0
	s_ashr_i32 s18, s0, 3
	s_ashr_i32 s13, s12, 31
	v_cmp_gt_i32_e32 vcc, s18, v0
	s_and_saveexec_b64 s[0:1], vcc
	s_cbranch_execz .LBB8_57
; %bb.55:
	v_lshlrev_b32_e32 v2, 4, v0
	v_mov_b32_e32 v3, 0
	v_lshl_add_u64 v[2:3], s[12:13], 1, v[2:3]
	s_mov_b32 s15, 0
	v_lshl_add_u64 v[2:3], v[2:3], 0, 8
	s_lshl_b32 s14, s33, 4
	s_mov_b64 s[16:17], 0
	v_mov_b32_e32 v1, v0
.LBB8_56:                               ; =>This Inner Loop Header: Depth=1
	v_lshl_add_u64 v[4:5], s[10:11], 0, v[2:3]
	global_load_dwordx4 v[4:7], v[4:5], off offset:-8
	v_add_u32_e32 v1, s33, v1
	v_cmp_le_i32_e32 vcc, s18, v1
	v_lshl_add_u64 v[8:9], s[6:7], 0, v[2:3]
	v_lshl_add_u64 v[2:3], v[2:3], 0, s[14:15]
	s_or_b64 s[16:17], vcc, s[16:17]
	s_waitcnt vmcnt(0)
	global_store_dwordx4 v[8:9], v[4:7], off offset:-8
	s_andn2_b64 exec, exec, s[16:17]
	s_cbranch_execnz .LBB8_56
.LBB8_57:
	s_or_b64 exec, exec, s[0:1]
	v_lshl_add_u32 v2, s18, 3, v0
	v_cmp_gt_i32_e32 vcc, s23, v2
	s_and_saveexec_b64 s[14:15], vcc
	s_cbranch_execz .LBB8_65
; %bb.58:
	v_cvt_f32_u32_e32 v1, s33
	v_add_u32_e32 v3, s33, v2
	v_mov_b32_e32 v4, s33
	s_sub_i32 s16, 0, s33
	v_rcp_iflag_f32_e32 v1, v1
	v_cmp_gt_i32_e32 vcc, s23, v3
	v_max_i32_e32 v5, s23, v3
	s_cmp_eq_u32 s33, 1
	v_mul_f32_e32 v1, 0x4f7ffffe, v1
	v_cvt_u32_f32_e32 v1, v1
	v_addc_co_u32_e64 v3, s[0:1], v2, v4, vcc
	v_sub_u32_e32 v3, v5, v3
	v_mul_lo_u32 v4, s16, v1
	v_mul_hi_u32 v4, v1, v4
	v_add_u32_e32 v1, v1, v4
	v_mul_hi_u32 v1, v3, v1
	v_mul_lo_u32 v4, v1, s33
	v_sub_u32_e32 v3, v3, v4
	v_add_u32_e32 v5, 1, v1
	v_cmp_le_u32_e64 s[0:1], s33, v3
	v_subrev_u32_e32 v4, s33, v3
	s_mov_b64 s[16:17], -1
	v_cndmask_b32_e64 v1, v1, v5, s[0:1]
	v_cndmask_b32_e64 v3, v3, v4, s[0:1]
	v_add_u32_e32 v4, 1, v1
	v_cmp_le_u32_e64 s[0:1], s33, v3
	s_nop 1
	v_cndmask_b32_e64 v1, v1, v4, s[0:1]
	v_addc_co_u32_e32 v1, vcc, 1, v1, vcc
	v_cmp_lt_u32_e32 vcc, 31, v1
	s_cselect_b64 s[0:1], -1, 0
	s_and_b64 s[18:19], vcc, s[0:1]
	s_and_saveexec_b64 s[0:1], s[18:19]
	s_cbranch_execz .LBB8_62
; %bb.59:
	s_lshl_b64 s[18:19], s[12:13], 1
	s_add_u32 s16, s10, s18
	s_addc_u32 s17, s11, s19
	s_add_u32 s18, s6, s18
	v_and_b32_e32 v3, 0xffffffe0, v1
	s_addc_u32 s19, s7, s19
	s_mov_b64 s[20:21], 0
	v_mov_b32_e32 v4, v2
	v_mov_b32_e32 v6, v3
.LBB8_60:                               ; =>This Inner Loop Header: Depth=1
	v_ashrrev_i32_e32 v5, 31, v4
	v_lshlrev_b64 v[24:25], 1, v[4:5]
	v_lshl_add_u64 v[26:27], s[16:17], 0, v[24:25]
	global_load_dwordx4 v[8:11], v[26:27], off
	global_load_dwordx4 v[12:15], v[26:27], off offset:16
	global_load_dwordx4 v[16:19], v[26:27], off offset:32
	;; [unrolled: 1-line block ×3, first 2 shown]
	v_subrev_u32_e32 v6, 32, v6
	v_cmp_eq_u32_e32 vcc, 0, v6
	v_lshl_add_u64 v[24:25], s[18:19], 0, v[24:25]
	s_or_b64 s[20:21], vcc, s[20:21]
	v_add_u32_e32 v4, 32, v4
	s_waitcnt vmcnt(3)
	global_store_dwordx4 v[24:25], v[8:11], off
	s_waitcnt vmcnt(3)
	global_store_dwordx4 v[24:25], v[12:15], off offset:16
	s_waitcnt vmcnt(3)
	global_store_dwordx4 v[24:25], v[16:19], off offset:32
	;; [unrolled: 2-line block ×3, first 2 shown]
	s_andn2_b64 exec, exec, s[20:21]
	s_cbranch_execnz .LBB8_60
; %bb.61:
	s_or_b64 exec, exec, s[20:21]
	v_cmp_ne_u32_e32 vcc, v1, v3
	v_add_u32_e32 v2, v2, v3
	s_orn2_b64 s[16:17], vcc, exec
.LBB8_62:
	s_or_b64 exec, exec, s[0:1]
	s_and_b64 exec, exec, s[16:17]
	s_cbranch_execz .LBB8_65
; %bb.63:
	v_ashrrev_i32_e32 v3, 31, v2
	v_lshlrev_b64 v[4:5], 1, v[2:3]
	v_lshl_add_u64 v[4:5], s[12:13], 1, v[4:5]
	s_lshl_b32 s0, s33, 1
	s_mov_b32 s1, 0
	s_mov_b64 s[12:13], 0
.LBB8_64:                               ; =>This Inner Loop Header: Depth=1
	v_lshl_add_u64 v[6:7], s[10:11], 0, v[4:5]
	global_load_ushort v1, v[6:7], off
	v_add_u32_e32 v2, s33, v2
	v_cmp_le_i32_e32 vcc, s23, v2
	v_lshl_add_u64 v[6:7], s[6:7], 0, v[4:5]
	v_lshl_add_u64 v[4:5], v[4:5], 0, s[0:1]
	s_or_b64 s[12:13], vcc, s[12:13]
	s_waitcnt vmcnt(0)
	global_store_short v[6:7], v1, off
	s_andn2_b64 exec, exec, s[12:13]
	s_cbranch_execnz .LBB8_64
.LBB8_65:
	s_or_b64 exec, exec, s[14:15]
	s_mov_b64 s[0:1], 0
.LBB8_66:
	s_and_b64 vcc, exec, s[0:1]
	s_cbranch_vccz .LBB8_71
; %bb.67:
	s_ashr_i32 s16, s22, 3
	v_cmp_gt_i32_e32 vcc, s16, v0
	s_and_saveexec_b64 s[0:1], vcc
	s_cbranch_execz .LBB8_70
; %bb.68:
	v_lshl_or_b32 v2, v0, 4, 8
	v_mov_b32_e32 v3, 0
	s_lshl_b32 s12, s33, 4
	s_mov_b32 s13, 0
	s_mov_b64 s[14:15], 0
	v_mov_b32_e32 v1, v0
.LBB8_69:                               ; =>This Inner Loop Header: Depth=1
	v_lshl_add_u64 v[4:5], s[10:11], 0, v[2:3]
	global_load_dwordx4 v[4:7], v[4:5], off offset:-8
	v_add_u32_e32 v1, s33, v1
	v_cmp_le_i32_e32 vcc, s16, v1
	v_lshl_add_u64 v[8:9], s[6:7], 0, v[2:3]
	v_lshl_add_u64 v[2:3], v[2:3], 0, s[12:13]
	s_or_b64 s[14:15], vcc, s[14:15]
	s_waitcnt vmcnt(0)
	global_store_dwordx4 v[8:9], v[4:7], off offset:-8
	s_andn2_b64 exec, exec, s[14:15]
	s_cbranch_execnz .LBB8_69
.LBB8_70:
	s_or_b64 exec, exec, s[0:1]
.LBB8_71:
	s_and_b32 s0, s2, 15
	s_mov_b32 s1, 0
	s_cmp_lg_u64 s[0:1], 0
	s_cselect_b64 s[6:7], -1, 0
	s_xor_b64 s[8:9], s[8:9], -1
	s_or_b64 s[6:7], s[8:9], s[6:7]
	s_mov_b64 s[0:1], -1
	s_and_b64 vcc, exec, s[6:7]
	s_cbranch_vccz .LBB8_87
; %bb.72:
	s_sub_i32 s0, 0, s2
	s_bfe_u32 s0, s0, 0x30001
	s_min_i32 s6, s0, s22
	v_cmp_gt_i32_e32 vcc, s6, v0
	s_and_saveexec_b64 s[0:1], vcc
	s_cbranch_execz .LBB8_75
; %bb.73:
	v_lshlrev_b32_e32 v2, 1, v0
	s_mov_b32 s9, 0
	v_mov_b32_e32 v3, 0
	s_lshl_b32 s8, s33, 1
	s_mov_b64 s[10:11], 0
	v_mov_b32_e32 v1, v0
.LBB8_74:                               ; =>This Inner Loop Header: Depth=1
	v_lshl_add_u64 v[4:5], s[2:3], 0, v[2:3]
	global_load_ushort v6, v[4:5], off
	v_add_u32_e32 v1, s33, v1
	v_cmp_le_i32_e32 vcc, s6, v1
	v_lshl_add_u64 v[4:5], s[4:5], 0, v[2:3]
	v_lshl_add_u64 v[2:3], v[2:3], 0, s[8:9]
	s_or_b64 s[10:11], vcc, s[10:11]
	s_waitcnt vmcnt(0)
	global_store_short v[4:5], v6, off
	s_andn2_b64 exec, exec, s[10:11]
	s_cbranch_execnz .LBB8_74
.LBB8_75:
	s_or_b64 exec, exec, s[0:1]
	s_sub_i32 s16, s22, s6
	s_ashr_i32 s0, s16, 31
	s_lshr_b32 s0, s0, 29
	s_add_i32 s0, s16, s0
	s_ashr_i32 s12, s0, 3
	s_ashr_i32 s7, s6, 31
	v_cmp_gt_i32_e32 vcc, s12, v0
	s_and_saveexec_b64 s[0:1], vcc
	s_cbranch_execz .LBB8_78
; %bb.76:
	v_lshlrev_b32_e32 v2, 4, v0
	v_mov_b32_e32 v3, 0
	v_lshl_add_u64 v[2:3], s[6:7], 1, v[2:3]
	s_mov_b32 s9, 0
	v_lshl_add_u64 v[2:3], v[2:3], 0, 8
	s_lshl_b32 s8, s33, 4
	s_mov_b64 s[10:11], 0
	v_mov_b32_e32 v1, v0
.LBB8_77:                               ; =>This Inner Loop Header: Depth=1
	v_lshl_add_u64 v[4:5], s[2:3], 0, v[2:3]
	global_load_dwordx4 v[4:7], v[4:5], off offset:-8
	v_add_u32_e32 v1, s33, v1
	v_cmp_le_i32_e32 vcc, s12, v1
	v_lshl_add_u64 v[8:9], s[4:5], 0, v[2:3]
	v_lshl_add_u64 v[2:3], v[2:3], 0, s[8:9]
	s_or_b64 s[10:11], vcc, s[10:11]
	s_waitcnt vmcnt(0)
	global_store_dwordx4 v[8:9], v[4:7], off offset:-8
	s_andn2_b64 exec, exec, s[10:11]
	s_cbranch_execnz .LBB8_77
.LBB8_78:
	s_or_b64 exec, exec, s[0:1]
	v_lshl_add_u32 v2, s12, 3, v0
	v_cmp_gt_i32_e32 vcc, s16, v2
	s_and_saveexec_b64 s[8:9], vcc
	s_cbranch_execz .LBB8_86
; %bb.79:
	v_cvt_f32_u32_e32 v1, s33
	v_add_u32_e32 v3, s33, v2
	v_mov_b32_e32 v4, s33
	s_sub_i32 s10, 0, s33
	v_rcp_iflag_f32_e32 v1, v1
	v_cmp_gt_i32_e32 vcc, s16, v3
	v_max_i32_e32 v5, s16, v3
	s_cmp_eq_u32 s33, 1
	v_mul_f32_e32 v1, 0x4f7ffffe, v1
	v_cvt_u32_f32_e32 v1, v1
	v_addc_co_u32_e64 v3, s[0:1], v2, v4, vcc
	v_sub_u32_e32 v3, v5, v3
	v_mul_lo_u32 v4, s10, v1
	v_mul_hi_u32 v4, v1, v4
	v_add_u32_e32 v1, v1, v4
	v_mul_hi_u32 v1, v3, v1
	v_mul_lo_u32 v4, v1, s33
	v_sub_u32_e32 v3, v3, v4
	v_add_u32_e32 v5, 1, v1
	v_cmp_le_u32_e64 s[0:1], s33, v3
	v_subrev_u32_e32 v4, s33, v3
	s_mov_b64 s[10:11], -1
	v_cndmask_b32_e64 v1, v1, v5, s[0:1]
	v_cndmask_b32_e64 v3, v3, v4, s[0:1]
	v_add_u32_e32 v4, 1, v1
	v_cmp_le_u32_e64 s[0:1], s33, v3
	s_nop 1
	v_cndmask_b32_e64 v1, v1, v4, s[0:1]
	v_addc_co_u32_e32 v1, vcc, 1, v1, vcc
	v_cmp_lt_u32_e32 vcc, 31, v1
	s_cselect_b64 s[0:1], -1, 0
	s_and_b64 s[12:13], vcc, s[0:1]
	s_and_saveexec_b64 s[0:1], s[12:13]
	s_cbranch_execz .LBB8_83
; %bb.80:
	s_lshl_b64 s[12:13], s[6:7], 1
	s_add_u32 s10, s2, s12
	s_addc_u32 s11, s3, s13
	s_add_u32 s12, s4, s12
	v_and_b32_e32 v3, 0xffffffe0, v1
	s_addc_u32 s13, s5, s13
	s_mov_b64 s[14:15], 0
	v_mov_b32_e32 v4, v2
	v_mov_b32_e32 v6, v3
.LBB8_81:                               ; =>This Inner Loop Header: Depth=1
	v_ashrrev_i32_e32 v5, 31, v4
	v_lshlrev_b64 v[24:25], 1, v[4:5]
	v_lshl_add_u64 v[26:27], s[10:11], 0, v[24:25]
	global_load_dwordx4 v[8:11], v[26:27], off
	global_load_dwordx4 v[12:15], v[26:27], off offset:16
	global_load_dwordx4 v[16:19], v[26:27], off offset:32
	;; [unrolled: 1-line block ×3, first 2 shown]
	v_subrev_u32_e32 v6, 32, v6
	v_cmp_eq_u32_e32 vcc, 0, v6
	v_lshl_add_u64 v[24:25], s[12:13], 0, v[24:25]
	s_or_b64 s[14:15], vcc, s[14:15]
	v_add_u32_e32 v4, 32, v4
	s_waitcnt vmcnt(3)
	global_store_dwordx4 v[24:25], v[8:11], off
	s_waitcnt vmcnt(3)
	global_store_dwordx4 v[24:25], v[12:15], off offset:16
	s_waitcnt vmcnt(3)
	global_store_dwordx4 v[24:25], v[16:19], off offset:32
	;; [unrolled: 2-line block ×3, first 2 shown]
	s_andn2_b64 exec, exec, s[14:15]
	s_cbranch_execnz .LBB8_81
; %bb.82:
	s_or_b64 exec, exec, s[14:15]
	v_cmp_ne_u32_e32 vcc, v1, v3
	v_add_u32_e32 v2, v2, v3
	s_orn2_b64 s[10:11], vcc, exec
.LBB8_83:
	s_or_b64 exec, exec, s[0:1]
	s_and_b64 exec, exec, s[10:11]
	s_cbranch_execz .LBB8_86
; %bb.84:
	v_ashrrev_i32_e32 v3, 31, v2
	v_lshlrev_b64 v[4:5], 1, v[2:3]
	v_lshl_add_u64 v[4:5], s[6:7], 1, v[4:5]
	s_lshl_b32 s0, s33, 1
	s_mov_b32 s1, 0
	s_mov_b64 s[6:7], 0
.LBB8_85:                               ; =>This Inner Loop Header: Depth=1
	v_lshl_add_u64 v[6:7], s[2:3], 0, v[4:5]
	global_load_ushort v1, v[6:7], off
	v_add_u32_e32 v2, s33, v2
	v_cmp_le_i32_e32 vcc, s16, v2
	v_lshl_add_u64 v[6:7], s[4:5], 0, v[4:5]
	v_lshl_add_u64 v[4:5], v[4:5], 0, s[0:1]
	s_or_b64 s[6:7], vcc, s[6:7]
	s_waitcnt vmcnt(0)
	global_store_short v[6:7], v1, off
	s_andn2_b64 exec, exec, s[6:7]
	s_cbranch_execnz .LBB8_85
.LBB8_86:
	s_or_b64 exec, exec, s[8:9]
	s_mov_b64 s[0:1], 0
.LBB8_87:
	s_and_b64 vcc, exec, s[0:1]
	s_cbranch_vccz .LBB8_91
; %bb.88:
	s_ashr_i32 s8, s22, 3
	v_cmp_gt_i32_e32 vcc, s8, v0
	s_and_saveexec_b64 s[0:1], vcc
	s_cbranch_execz .LBB8_91
; %bb.89:
	v_lshl_or_b32 v2, v0, 4, 8
	v_mov_b32_e32 v3, 0
	s_lshl_b32 s0, s33, 4
	s_mov_b32 s1, 0
	s_mov_b64 s[6:7], 0
.LBB8_90:                               ; =>This Inner Loop Header: Depth=1
	v_lshl_add_u64 v[4:5], s[2:3], 0, v[2:3]
	global_load_dwordx4 v[4:7], v[4:5], off offset:-8
	v_add_u32_e32 v0, s33, v0
	v_cmp_le_i32_e32 vcc, s8, v0
	v_lshl_add_u64 v[8:9], s[4:5], 0, v[2:3]
	v_lshl_add_u64 v[2:3], v[2:3], 0, s[0:1]
	s_or_b64 s[6:7], vcc, s[6:7]
	s_waitcnt vmcnt(0)
	global_store_dwordx4 v[8:9], v[4:7], off offset:-8
	s_andn2_b64 exec, exec, s[6:7]
	s_cbranch_execnz .LBB8_90
.LBB8_91:
	s_endpgm
.LBB8_92:
                                        ; implicit-def: $sgpr28_sgpr29
	s_branch .LBB8_3
	.section	.rodata,"a",@progbits
	.p2align	6, 0x0
	.amdhsa_kernel _ZN4vllm30reshape_and_cache_flash_kernelIttLNS_18Fp8KVCacheDataTypeE0EEEvPKT_S4_PT0_S6_PKlllllliiiPKfSA_i
		.amdhsa_group_segment_fixed_size 0
		.amdhsa_private_segment_fixed_size 0
		.amdhsa_kernarg_size 376
		.amdhsa_user_sgpr_count 2
		.amdhsa_user_sgpr_dispatch_ptr 0
		.amdhsa_user_sgpr_queue_ptr 0
		.amdhsa_user_sgpr_kernarg_segment_ptr 1
		.amdhsa_user_sgpr_dispatch_id 0
		.amdhsa_user_sgpr_kernarg_preload_length 0
		.amdhsa_user_sgpr_kernarg_preload_offset 0
		.amdhsa_user_sgpr_private_segment_size 0
		.amdhsa_uses_dynamic_stack 0
		.amdhsa_enable_private_segment 0
		.amdhsa_system_sgpr_workgroup_id_x 1
		.amdhsa_system_sgpr_workgroup_id_y 0
		.amdhsa_system_sgpr_workgroup_id_z 0
		.amdhsa_system_sgpr_workgroup_info 0
		.amdhsa_system_vgpr_workitem_id 0
		.amdhsa_next_free_vgpr 61
		.amdhsa_next_free_sgpr 42
		.amdhsa_accum_offset 64
		.amdhsa_reserve_vcc 1
		.amdhsa_float_round_mode_32 0
		.amdhsa_float_round_mode_16_64 0
		.amdhsa_float_denorm_mode_32 3
		.amdhsa_float_denorm_mode_16_64 3
		.amdhsa_dx10_clamp 1
		.amdhsa_ieee_mode 1
		.amdhsa_fp16_overflow 0
		.amdhsa_tg_split 0
		.amdhsa_exception_fp_ieee_invalid_op 0
		.amdhsa_exception_fp_denorm_src 0
		.amdhsa_exception_fp_ieee_div_zero 0
		.amdhsa_exception_fp_ieee_overflow 0
		.amdhsa_exception_fp_ieee_underflow 0
		.amdhsa_exception_fp_ieee_inexact 0
		.amdhsa_exception_int_div_zero 0
	.end_amdhsa_kernel
	.section	.text._ZN4vllm30reshape_and_cache_flash_kernelIttLNS_18Fp8KVCacheDataTypeE0EEEvPKT_S4_PT0_S6_PKlllllliiiPKfSA_i,"axG",@progbits,_ZN4vllm30reshape_and_cache_flash_kernelIttLNS_18Fp8KVCacheDataTypeE0EEEvPKT_S4_PT0_S6_PKlllllliiiPKfSA_i,comdat
.Lfunc_end8:
	.size	_ZN4vllm30reshape_and_cache_flash_kernelIttLNS_18Fp8KVCacheDataTypeE0EEEvPKT_S4_PT0_S6_PKlllllliiiPKfSA_i, .Lfunc_end8-_ZN4vllm30reshape_and_cache_flash_kernelIttLNS_18Fp8KVCacheDataTypeE0EEEvPKT_S4_PT0_S6_PKlllllliiiPKfSA_i
                                        ; -- End function
	.section	.AMDGPU.csdata,"",@progbits
; Kernel info:
; codeLenInByte = 5104
; NumSgprs: 48
; NumVgprs: 61
; NumAgprs: 0
; TotalNumVgprs: 61
; ScratchSize: 0
; MemoryBound: 0
; FloatMode: 240
; IeeeMode: 1
; LDSByteSize: 0 bytes/workgroup (compile time only)
; SGPRBlocks: 5
; VGPRBlocks: 7
; NumSGPRsForWavesPerEU: 48
; NumVGPRsForWavesPerEU: 61
; AccumOffset: 64
; Occupancy: 8
; WaveLimiterHint : 1
; COMPUTE_PGM_RSRC2:SCRATCH_EN: 0
; COMPUTE_PGM_RSRC2:USER_SGPR: 2
; COMPUTE_PGM_RSRC2:TRAP_HANDLER: 0
; COMPUTE_PGM_RSRC2:TGID_X_EN: 1
; COMPUTE_PGM_RSRC2:TGID_Y_EN: 0
; COMPUTE_PGM_RSRC2:TGID_Z_EN: 0
; COMPUTE_PGM_RSRC2:TIDIG_COMP_CNT: 0
; COMPUTE_PGM_RSRC3_GFX90A:ACCUM_OFFSET: 15
; COMPUTE_PGM_RSRC3_GFX90A:TG_SPLIT: 0
	.section	.text._ZN4vllm30reshape_and_cache_flash_kernelI14__hip_bfloat16S1_LNS_18Fp8KVCacheDataTypeE0EEEvPKT_S5_PT0_S7_PKlllllliiiPKfSB_i,"axG",@progbits,_ZN4vllm30reshape_and_cache_flash_kernelI14__hip_bfloat16S1_LNS_18Fp8KVCacheDataTypeE0EEEvPKT_S5_PT0_S7_PKlllllliiiPKfSB_i,comdat
	.protected	_ZN4vllm30reshape_and_cache_flash_kernelI14__hip_bfloat16S1_LNS_18Fp8KVCacheDataTypeE0EEEvPKT_S5_PT0_S7_PKlllllliiiPKfSB_i ; -- Begin function _ZN4vllm30reshape_and_cache_flash_kernelI14__hip_bfloat16S1_LNS_18Fp8KVCacheDataTypeE0EEEvPKT_S5_PT0_S7_PKlllllliiiPKfSB_i
	.globl	_ZN4vllm30reshape_and_cache_flash_kernelI14__hip_bfloat16S1_LNS_18Fp8KVCacheDataTypeE0EEEvPKT_S5_PT0_S7_PKlllllliiiPKfSB_i
	.p2align	8
	.type	_ZN4vllm30reshape_and_cache_flash_kernelI14__hip_bfloat16S1_LNS_18Fp8KVCacheDataTypeE0EEEvPKT_S5_PT0_S7_PKlllllliiiPKfSB_i,@function
_ZN4vllm30reshape_and_cache_flash_kernelI14__hip_bfloat16S1_LNS_18Fp8KVCacheDataTypeE0EEEvPKT_S5_PT0_S7_PKlllllliiiPKfSB_i: ; @_ZN4vllm30reshape_and_cache_flash_kernelI14__hip_bfloat16S1_LNS_18Fp8KVCacheDataTypeE0EEEvPKT_S5_PT0_S7_PKlllllliiiPKfSB_i
; %bb.0:
	s_load_dwordx2 s[4:5], s[0:1], 0x20
	s_mov_b32 s3, 0
	s_lshl_b64 s[6:7], s[2:3], 3
	s_waitcnt lgkmcnt(0)
	s_add_u32 s4, s4, s6
	s_addc_u32 s5, s5, s7
	s_load_dwordx2 s[24:25], s[4:5], 0x0
	s_waitcnt lgkmcnt(0)
	v_cmp_lt_i64_e64 s[4:5], s[24:25], 0
	s_and_b64 vcc, exec, s[4:5]
	s_cbranch_vccnz .LBB9_91
; %bb.1:
	s_load_dwordx4 s[20:23], s[0:1], 0x50
	s_load_dwordx8 s[12:19], s[0:1], 0x0
	s_waitcnt lgkmcnt(0)
	s_ashr_i32 s23, s22, 31
	s_or_b64 s[4:5], s[24:25], s[22:23]
	s_mov_b32 s4, s3
	s_cmp_lg_u64 s[4:5], 0
	s_cbranch_scc0 .LBB9_92
; %bb.2:
	s_add_u32 s4, s22, s23
	s_mov_b32 s8, s23
	s_mov_b32 s9, s23
	s_addc_u32 s5, s23, s23
	s_xor_b64 s[10:11], s[4:5], s[8:9]
	v_cvt_f32_u32_e32 v1, s10
	v_cvt_f32_u32_e32 v2, s11
	s_sub_u32 s3, 0, s10
	s_subb_u32 s4, 0, s11
	v_fmamk_f32 v1, v2, 0x4f800000, v1
	v_rcp_f32_e32 v1, v1
	s_nop 0
	v_mul_f32_e32 v1, 0x5f7ffffc, v1
	v_mul_f32_e32 v2, 0x2f800000, v1
	v_trunc_f32_e32 v2, v2
	v_fmamk_f32 v1, v2, 0xcf800000, v1
	v_cvt_u32_f32_e32 v2, v2
	v_cvt_u32_f32_e32 v1, v1
	v_readfirstlane_b32 s5, v2
	v_readfirstlane_b32 s26, v1
	s_mul_i32 s27, s3, s5
	s_mul_hi_u32 s29, s3, s26
	s_mul_i32 s28, s4, s26
	s_add_i32 s27, s29, s27
	s_add_i32 s27, s27, s28
	s_mul_i32 s30, s3, s26
	s_mul_hi_u32 s28, s26, s27
	s_mul_i32 s29, s26, s27
	s_mul_hi_u32 s26, s26, s30
	s_add_u32 s26, s26, s29
	s_addc_u32 s28, 0, s28
	s_mul_hi_u32 s31, s5, s30
	s_mul_i32 s30, s5, s30
	s_add_u32 s26, s26, s30
	s_mul_hi_u32 s29, s5, s27
	s_addc_u32 s26, s28, s31
	s_addc_u32 s28, s29, 0
	s_mul_i32 s27, s5, s27
	s_add_u32 s26, s26, s27
	s_addc_u32 s27, 0, s28
	v_add_co_u32_e32 v1, vcc, s26, v1
	s_cmp_lg_u64 vcc, 0
	s_addc_u32 s5, s5, s27
	v_readfirstlane_b32 s27, v1
	s_mul_i32 s26, s3, s5
	s_mul_hi_u32 s28, s3, s27
	s_add_i32 s26, s28, s26
	s_mul_i32 s4, s4, s27
	s_add_i32 s26, s26, s4
	s_mul_i32 s3, s3, s27
	s_mul_hi_u32 s28, s5, s3
	s_mul_i32 s29, s5, s3
	s_mul_i32 s31, s27, s26
	s_mul_hi_u32 s3, s27, s3
	s_mul_hi_u32 s30, s27, s26
	s_add_u32 s3, s3, s31
	s_addc_u32 s27, 0, s30
	s_add_u32 s3, s3, s29
	s_mul_hi_u32 s4, s5, s26
	s_addc_u32 s3, s27, s28
	s_addc_u32 s4, s4, 0
	s_mul_i32 s26, s5, s26
	s_add_u32 s3, s3, s26
	s_addc_u32 s4, 0, s4
	v_add_co_u32_e32 v1, vcc, s3, v1
	s_cmp_lg_u64 vcc, 0
	s_addc_u32 s3, s5, s4
	s_ashr_i32 s26, s25, 31
	s_add_u32 s4, s24, s26
	s_mov_b32 s27, s26
	s_addc_u32 s5, s25, s26
	s_xor_b64 s[28:29], s[4:5], s[26:27]
	v_readfirstlane_b32 s30, v1
	s_mul_i32 s5, s28, s3
	s_mul_hi_u32 s31, s28, s30
	s_mul_hi_u32 s4, s28, s3
	s_add_u32 s5, s31, s5
	s_addc_u32 s4, 0, s4
	s_mul_hi_u32 s33, s29, s30
	s_mul_i32 s30, s29, s30
	s_add_u32 s5, s5, s30
	s_mul_hi_u32 s31, s29, s3
	s_addc_u32 s4, s4, s33
	s_addc_u32 s5, s31, 0
	s_mul_i32 s3, s29, s3
	s_add_u32 s3, s4, s3
	s_addc_u32 s30, 0, s5
	s_mul_i32 s4, s10, s30
	s_mul_hi_u32 s5, s10, s3
	s_add_i32 s4, s5, s4
	s_mul_i32 s5, s11, s3
	s_add_i32 s31, s4, s5
	s_mul_i32 s5, s10, s3
	v_mov_b32_e32 v1, s5
	s_sub_i32 s4, s29, s31
	v_sub_co_u32_e32 v1, vcc, s28, v1
	s_cmp_lg_u64 vcc, 0
	s_subb_u32 s28, s4, s11
	v_subrev_co_u32_e64 v2, s[4:5], s10, v1
	s_cmp_lg_u64 s[4:5], 0
	s_subb_u32 s4, s28, 0
	s_cmp_ge_u32 s4, s11
	v_readfirstlane_b32 s28, v2
	s_cselect_b32 s5, -1, 0
	s_cmp_ge_u32 s28, s10
	s_cselect_b32 s28, -1, 0
	s_cmp_eq_u32 s4, s11
	s_cselect_b32 s4, s28, s5
	s_add_u32 s5, s3, 1
	s_addc_u32 s28, s30, 0
	s_add_u32 s33, s3, 2
	s_addc_u32 s34, s30, 0
	s_cmp_lg_u32 s4, 0
	s_cselect_b32 s4, s33, s5
	s_cselect_b32 s5, s34, s28
	s_cmp_lg_u64 vcc, 0
	s_subb_u32 s28, s29, s31
	s_cmp_ge_u32 s28, s11
	v_readfirstlane_b32 s31, v1
	s_cselect_b32 s29, -1, 0
	s_cmp_ge_u32 s31, s10
	s_cselect_b32 s10, -1, 0
	s_cmp_eq_u32 s28, s11
	s_cselect_b32 s10, s10, s29
	s_cmp_lg_u32 s10, 0
	s_cselect_b32 s5, s5, s30
	s_cselect_b32 s4, s4, s3
	s_xor_b64 s[8:9], s[26:27], s[8:9]
	s_xor_b64 s[4:5], s[4:5], s[8:9]
	s_sub_u32 s28, s4, s8
	s_subb_u32 s29, s5, s9
	s_cbranch_execnz .LBB9_4
.LBB9_3:
	v_cvt_f32_u32_e32 v1, s22
	s_sub_i32 s3, 0, s22
	s_mov_b32 s29, 0
	v_rcp_iflag_f32_e32 v1, v1
	s_nop 0
	v_mul_f32_e32 v1, 0x4f7ffffe, v1
	v_cvt_u32_f32_e32 v1, v1
	s_nop 0
	v_readfirstlane_b32 s4, v1
	s_mul_i32 s3, s3, s4
	s_mul_hi_u32 s3, s4, s3
	s_add_i32 s4, s4, s3
	s_mul_hi_u32 s3, s24, s4
	s_mul_i32 s5, s3, s22
	s_sub_i32 s5, s24, s5
	s_add_i32 s4, s3, 1
	s_sub_i32 s6, s5, s22
	s_cmp_ge_u32 s5, s22
	s_cselect_b32 s3, s4, s3
	s_cselect_b32 s5, s6, s5
	s_add_i32 s4, s3, 1
	s_cmp_ge_u32 s5, s22
	s_cselect_b32 s28, s4, s3
.LBB9_4:
	s_load_dwordx8 s[4:11], s[0:1], 0x28
	s_mul_i32 s3, s28, s23
	s_mul_hi_u32 s23, s28, s22
	s_add_i32 s3, s23, s3
	s_mul_i32 s23, s29, s22
	s_add_i32 s3, s3, s23
	s_mul_i32 s22, s28, s22
	s_sub_u32 s30, s24, s22
	s_load_dwordx2 s[22:23], s[0:1], 0x48
	s_subb_u32 s31, s25, s3
	s_waitcnt lgkmcnt(0)
	s_mul_i32 s3, s2, s11
	s_mul_hi_u32 s11, s2, s10
	s_add_i32 s11, s11, s3
	s_mul_i32 s10, s2, s10
	s_lshl_b64 s[26:27], s[10:11], 1
	s_add_u32 s10, s12, s26
	s_load_dword s33, s[0:1], 0x70
	s_load_dword s34, s[0:1], 0x84
	s_mul_i32 s0, s2, s23
	s_mul_hi_u32 s1, s2, s22
	s_addc_u32 s11, s13, s27
	s_add_i32 s1, s1, s0
	s_mul_i32 s0, s2, s22
	s_lshl_b64 s[0:1], s[0:1], 1
	s_add_u32 s2, s14, s0
	s_mul_i32 s5, s28, s5
	s_mul_hi_u32 s22, s28, s4
	s_addc_u32 s3, s15, s1
	s_add_i32 s5, s22, s5
	s_mul_i32 s22, s29, s4
	s_add_i32 s5, s5, s22
	s_mul_i32 s4, s28, s4
	s_lshl_b64 s[24:25], s[4:5], 1
	s_add_u32 s22, s16, s24
	s_mul_i32 s4, s30, s7
	s_mul_hi_u32 s5, s30, s6
	s_addc_u32 s23, s17, s25
	s_add_i32 s4, s5, s4
	s_mul_i32 s31, s31, s6
	s_add_i32 s5, s4, s31
	s_mul_i32 s4, s30, s6
	s_lshl_b64 s[28:29], s[4:5], 1
	s_add_u32 s6, s22, s28
	s_addc_u32 s7, s23, s29
	s_add_u32 s4, s18, s24
	s_addc_u32 s5, s19, s25
	;; [unrolled: 2-line block ×3, first 2 shown]
	s_ashr_i32 s23, s21, 31
	s_mov_b32 s22, s21
	s_cmp_lg_u64 s[22:23], s[8:9]
	s_cselect_b64 s[22:23], -1, 0
	s_waitcnt lgkmcnt(0)
	s_cmp_lg_u32 s33, 0
	s_cselect_b64 s[30:31], -1, 0
	s_or_b64 s[30:31], s[22:23], s[30:31]
	s_and_b32 s33, s34, 0xffff
	s_mov_b64 s[22:23], -1
	s_and_b64 vcc, exec, s[30:31]
	s_cbranch_vccz .LBB9_49
; %bb.5:
	v_lshrrev_b32_e32 v1, 5, v0
	v_cmp_gt_i32_e32 vcc, s20, v1
	s_and_saveexec_b64 s[22:23], vcc
	s_cbranch_execz .LBB9_48
; %bb.6:
	s_lshr_b32 s38, s33, 5
	s_and_b32 s30, s21, 7
	s_cmp_eq_u32 s30, 0
	v_mad_u64_u32 v[2:3], s[34:35], s8, v1, 0
	s_cselect_b64 s[30:31], -1, 0
	s_ashr_i32 s39, s21, 3
	v_mov_b32_e32 v4, v3
	v_mad_u64_u32 v[4:5], s[34:35], s9, v1, v[4:5]
	s_add_u32 s24, s28, s24
	v_mov_b32_e32 v3, v4
	s_addc_u32 s25, s29, s25
	v_lshl_add_u64 v[2:3], v[2:3], 1, s[24:25]
	s_mul_i32 s24, s9, s38
	s_mul_hi_u32 s25, s8, s38
	s_add_i32 s25, s25, s24
	s_mul_i32 s24, s8, s38
	s_lshl_b64 s[24:25], s[24:25], 1
	v_and_b32_e32 v8, 31, v0
	s_add_u32 s12, s12, s26
	v_mov_b32_e32 v11, 0
	v_lshlrev_b32_e32 v10, 4, v8
	s_addc_u32 s13, s13, s27
	v_lshl_add_u64 v[4:5], v[2:3], 0, v[10:11]
	s_add_u32 s14, s14, s0
	v_lshl_add_u64 v[4:5], v[4:5], 0, 8
	s_addc_u32 s15, s15, s1
	v_lshl_add_u64 v[12:13], s[16:17], 0, v[4:5]
	v_lshl_add_u64 v[6:7], s[12:13], 0, v[10:11]
	v_lshl_add_u64 v[20:21], s[18:19], 0, v[4:5]
	v_lshl_add_u64 v[4:5], s[14:15], 0, v[10:11]
	v_cmp_gt_i32_e32 vcc, s39, v8
	v_not_b32_e32 v9, v8
	v_or_b32_e32 v40, 32, v8
	v_lshl_add_u64 v[14:15], v[6:7], 0, 8
	v_mul_lo_u32 v16, s21, v1
	s_mul_i32 s40, s21, s38
	v_lshl_add_u64 v[18:19], s[16:17], 0, v[2:3]
	v_lshl_add_u64 v[22:23], v[4:5], 0, 8
	;; [unrolled: 1-line block ×3, first 2 shown]
	s_mov_b64 s[16:17], 0
	s_xor_b64 s[18:19], s[30:31], -1
	s_mov_b64 s[26:27], 0x200
	s_movk_i32 s41, 0x5f
	v_lshlrev_b32_e32 v26, 1, v8
	s_branch .LBB9_9
.LBB9_7:                                ;   in Loop: Header=BB9_9 Depth=1
	s_or_b64 exec, exec, s[30:31]
.LBB9_8:                                ;   in Loop: Header=BB9_9 Depth=1
	s_or_b64 exec, exec, s[28:29]
	v_add_u32_e32 v1, s38, v1
	v_cmp_le_i32_e64 s[0:1], s20, v1
	v_lshl_add_u64 v[12:13], v[12:13], 0, s[24:25]
	v_add_u32_e32 v16, s40, v16
	v_lshl_add_u64 v[18:19], v[18:19], 0, s[24:25]
	v_lshl_add_u64 v[20:21], v[20:21], 0, s[24:25]
	s_or_b64 s[16:17], s[0:1], s[16:17]
	v_lshl_add_u64 v[24:25], v[24:25], 0, s[24:25]
	s_andn2_b64 exec, exec, s[16:17]
	s_cbranch_execz .LBB9_48
.LBB9_9:                                ; =>This Loop Header: Depth=1
                                        ;     Child Loop BB9_14 Depth 2
                                        ;     Child Loop BB9_18 Depth 2
	;; [unrolled: 1-line block ×8, first 2 shown]
	v_mul_lo_u32 v32, v1, s21
	v_ashrrev_i32_e32 v33, 31, v32
	v_mad_u64_u32 v[30:31], s[0:1], v1, s8, 0
	v_lshl_add_u64 v[4:5], v[32:33], 1, s[10:11]
	v_mov_b32_e32 v2, v31
	v_mad_u64_u32 v[2:3], s[0:1], v1, s9, v[2:3]
	v_and_b32_e32 v10, 15, v4
	v_ashrrev_i32_e32 v17, 31, v16
	v_cmp_ne_u64_e64 s[0:1], 0, v[10:11]
	v_lshlrev_b64 v[28:29], 1, v[16:17]
	v_mov_b32_e32 v31, v2
	s_or_b64 s[0:1], s[18:19], s[0:1]
	s_and_saveexec_b64 s[28:29], s[0:1]
	s_xor_b64 s[28:29], exec, s[28:29]
	s_cbranch_execz .LBB9_24
; %bb.10:                               ;   in Loop: Header=BB9_9 Depth=1
	v_sub_u32_e32 v2, 0, v4
	v_bfe_u32 v2, v2, 1, 3
	v_min_i32_e32 v34, s21, v2
	v_lshl_add_u64 v[6:7], v[30:31], 1, s[6:7]
	v_cmp_gt_i32_e64 s[0:1], v34, v8
	s_and_saveexec_b64 s[30:31], s[0:1]
	s_cbranch_execz .LBB9_12
; %bb.11:                               ;   in Loop: Header=BB9_9 Depth=1
	v_mov_b32_e32 v27, v11
	v_lshl_add_u64 v[2:3], v[4:5], 0, v[26:27]
	global_load_ushort v10, v[2:3], off
	v_lshl_add_u64 v[2:3], v[6:7], 0, v[26:27]
	s_waitcnt vmcnt(0)
	global_store_short v[2:3], v10, off
.LBB9_12:                               ;   in Loop: Header=BB9_9 Depth=1
	s_or_b64 exec, exec, s[30:31]
	v_sub_u32_e32 v10, s21, v34
	v_ashrrev_i32_e32 v2, 31, v10
	v_lshrrev_b32_e32 v2, 29, v2
	v_add_u32_e32 v2, v10, v2
	v_ashrrev_i32_e32 v17, 3, v2
	v_ashrrev_i32_e32 v35, 31, v34
	v_cmp_gt_i32_e64 s[0:1], v17, v8
	s_and_saveexec_b64 s[30:31], s[0:1]
	s_cbranch_execz .LBB9_15
; %bb.13:                               ;   in Loop: Header=BB9_9 Depth=1
	v_lshlrev_b64 v[36:37], 1, v[34:35]
	v_lshl_add_u64 v[2:3], v[12:13], 0, v[36:37]
	v_lshl_add_u64 v[36:37], v[36:37], 0, v[28:29]
	;; [unrolled: 1-line block ×3, first 2 shown]
	s_mov_b64 s[34:35], 0
	v_mov_b32_e32 v27, v8
.LBB9_14:                               ;   Parent Loop BB9_9 Depth=1
                                        ; =>  This Inner Loop Header: Depth=2
	global_load_dwordx4 v[42:45], v[36:37], off offset:-8
	v_add_u32_e32 v27, 32, v27
	v_cmp_ge_i32_e64 s[0:1], v27, v17
	v_lshl_add_u64 v[36:37], v[36:37], 0, s[26:27]
	s_or_b64 s[34:35], s[0:1], s[34:35]
	s_waitcnt vmcnt(0)
	global_store_dwordx4 v[2:3], v[42:45], off offset:-8
	v_lshl_add_u64 v[2:3], v[2:3], 0, s[26:27]
	s_andn2_b64 exec, exec, s[34:35]
	s_cbranch_execnz .LBB9_14
.LBB9_15:                               ;   in Loop: Header=BB9_9 Depth=1
	s_or_b64 exec, exec, s[30:31]
	v_lshlrev_b32_e32 v3, 3, v17
	v_add_u32_e32 v2, v3, v8
	v_cmp_lt_i32_e64 s[0:1], v2, v10
	s_and_saveexec_b64 s[30:31], s[0:1]
	s_cbranch_execz .LBB9_23
; %bb.16:                               ;   in Loop: Header=BB9_9 Depth=1
	v_add_u32_e32 v17, v40, v3
	v_max_i32_e32 v17, v17, v10
	v_add_u32_e32 v17, v17, v9
	v_sub_u32_e32 v3, v17, v3
	v_cmp_lt_u32_e64 s[0:1], s41, v3
	s_mov_b64 s[36:37], -1
	s_and_saveexec_b64 s[34:35], s[0:1]
	s_cbranch_execz .LBB9_20
; %bb.17:                               ;   in Loop: Header=BB9_9 Depth=1
	v_lshrrev_b32_e32 v3, 5, v3
	v_lshlrev_b64 v[38:39], 1, v[34:35]
	v_add_u32_e32 v17, 1, v3
	v_lshl_add_u64 v[36:37], v[4:5], 0, v[38:39]
	v_add_u32_e32 v5, 0x60, v2
	v_add_u32_e32 v4, 64, v2
	v_lshl_add_u64 v[38:39], v[6:7], 0, v[38:39]
	v_and_b32_e32 v27, 0xffffffc, v17
	v_add_u32_e32 v3, 32, v2
	v_mov_b64_e32 v[6:7], v[4:5]
	s_mov_b64 s[36:37], 0
	v_mov_b32_e32 v41, v27
	v_mov_b64_e32 v[4:5], v[2:3]
.LBB9_18:                               ;   Parent Loop BB9_9 Depth=1
                                        ; =>  This Inner Loop Header: Depth=2
	v_ashrrev_i32_e32 v49, 31, v4
	v_mov_b32_e32 v48, v4
	v_ashrrev_i32_e32 v43, 31, v7
	v_mov_b32_e32 v42, v7
	;; [unrolled: 2-line block ×4, first 2 shown]
	v_lshlrev_b64 v[48:49], 1, v[48:49]
	v_lshlrev_b64 v[46:47], 1, v[46:47]
	v_lshlrev_b64 v[44:45], 1, v[44:45]
	v_lshlrev_b64 v[42:43], 1, v[42:43]
	v_lshl_add_u64 v[50:51], v[36:37], 0, v[48:49]
	v_lshl_add_u64 v[52:53], v[36:37], 0, v[46:47]
	;; [unrolled: 1-line block ×4, first 2 shown]
	global_load_ushort v3, v[50:51], off
	global_load_ushort v58, v[52:53], off
	;; [unrolled: 1-line block ×4, first 2 shown]
	v_add_u32_e32 v41, -4, v41
	v_cmp_eq_u32_e64 s[0:1], 0, v41
	v_add_u32_e32 v7, 0x80, v7
	v_add_u32_e32 v6, 0x80, v6
	;; [unrolled: 1-line block ×4, first 2 shown]
	v_lshl_add_u64 v[48:49], v[38:39], 0, v[48:49]
	s_or_b64 s[36:37], s[0:1], s[36:37]
	v_lshl_add_u64 v[46:47], v[38:39], 0, v[46:47]
	v_lshl_add_u64 v[44:45], v[38:39], 0, v[44:45]
	;; [unrolled: 1-line block ×3, first 2 shown]
	s_waitcnt vmcnt(3)
	global_store_short v[48:49], v3, off
	s_waitcnt vmcnt(3)
	global_store_short v[46:47], v58, off
	;; [unrolled: 2-line block ×4, first 2 shown]
	s_andn2_b64 exec, exec, s[36:37]
	s_cbranch_execnz .LBB9_18
; %bb.19:                               ;   in Loop: Header=BB9_9 Depth=1
	s_or_b64 exec, exec, s[36:37]
	v_cmp_ne_u32_e64 s[0:1], v17, v27
	v_lshl_add_u32 v2, v27, 5, v2
	s_orn2_b64 s[36:37], s[0:1], exec
.LBB9_20:                               ;   in Loop: Header=BB9_9 Depth=1
	s_or_b64 exec, exec, s[34:35]
	s_and_b64 exec, exec, s[36:37]
	s_cbranch_execz .LBB9_23
; %bb.21:                               ;   in Loop: Header=BB9_9 Depth=1
	v_ashrrev_i32_e32 v3, 31, v2
	v_lshlrev_b64 v[4:5], 1, v[2:3]
	v_lshl_add_u64 v[6:7], v[34:35], 1, v[4:5]
	v_lshl_add_u64 v[4:5], v[6:7], 0, v[28:29]
	;; [unrolled: 1-line block ×4, first 2 shown]
	s_mov_b64 s[34:35], 0
.LBB9_22:                               ;   Parent Loop BB9_9 Depth=1
                                        ; =>  This Inner Loop Header: Depth=2
	global_load_ushort v3, v[4:5], off
	v_add_u32_e32 v2, 32, v2
	v_cmp_ge_i32_e64 s[0:1], v2, v10
	v_lshl_add_u64 v[4:5], v[4:5], 0, 64
	s_or_b64 s[34:35], s[0:1], s[34:35]
	s_waitcnt vmcnt(0)
	global_store_short v[6:7], v3, off
	v_lshl_add_u64 v[6:7], v[6:7], 0, 64
	s_andn2_b64 exec, exec, s[34:35]
	s_cbranch_execnz .LBB9_22
.LBB9_23:                               ;   in Loop: Header=BB9_9 Depth=1
	s_or_b64 exec, exec, s[30:31]
.LBB9_24:                               ;   in Loop: Header=BB9_9 Depth=1
	s_andn2_saveexec_b64 s[28:29], s[28:29]
	s_cbranch_execz .LBB9_29
; %bb.25:                               ;   in Loop: Header=BB9_9 Depth=1
	s_and_saveexec_b64 s[30:31], vcc
	s_cbranch_execz .LBB9_28
; %bb.26:                               ;   in Loop: Header=BB9_9 Depth=1
	v_lshl_add_u64 v[2:3], v[14:15], 0, v[28:29]
	s_mov_b64 s[34:35], 0
	s_mov_b64 s[36:37], 0
	v_mov_b32_e32 v4, v8
.LBB9_27:                               ;   Parent Loop BB9_9 Depth=1
                                        ; =>  This Inner Loop Header: Depth=2
	v_lshl_add_u64 v[6:7], v[2:3], 0, s[36:37]
	global_load_dwordx4 v[34:37], v[6:7], off offset:-8
	v_lshl_add_u64 v[6:7], v[12:13], 0, s[36:37]
	v_add_u32_e32 v4, 32, v4
	s_add_u32 s36, s36, 0x200
	s_addc_u32 s37, s37, 0
	v_cmp_le_i32_e64 s[0:1], s39, v4
	s_or_b64 s[34:35], s[0:1], s[34:35]
	s_waitcnt vmcnt(0)
	global_store_dwordx4 v[6:7], v[34:37], off offset:-8
	s_andn2_b64 exec, exec, s[34:35]
	s_cbranch_execnz .LBB9_27
.LBB9_28:                               ;   in Loop: Header=BB9_9 Depth=1
	s_or_b64 exec, exec, s[30:31]
.LBB9_29:                               ;   in Loop: Header=BB9_9 Depth=1
	s_or_b64 exec, exec, s[28:29]
	v_lshl_add_u64 v[4:5], v[32:33], 1, s[2:3]
	v_and_b32_e32 v10, 15, v4
	v_cmp_ne_u64_e64 s[0:1], 0, v[10:11]
	s_or_b64 s[0:1], s[18:19], s[0:1]
	s_and_saveexec_b64 s[28:29], s[0:1]
	s_xor_b64 s[28:29], exec, s[28:29]
	s_cbranch_execz .LBB9_44
; %bb.30:                               ;   in Loop: Header=BB9_9 Depth=1
	v_sub_u32_e32 v2, 0, v4
	v_bfe_u32 v2, v2, 1, 3
	v_lshl_add_u64 v[6:7], v[30:31], 1, s[4:5]
	v_min_i32_e32 v30, s21, v2
	v_cmp_gt_i32_e64 s[0:1], v30, v8
	s_and_saveexec_b64 s[30:31], s[0:1]
	s_cbranch_execz .LBB9_32
; %bb.31:                               ;   in Loop: Header=BB9_9 Depth=1
	v_mov_b32_e32 v27, v11
	v_lshl_add_u64 v[2:3], v[4:5], 0, v[26:27]
	global_load_ushort v10, v[2:3], off
	v_lshl_add_u64 v[2:3], v[6:7], 0, v[26:27]
	s_waitcnt vmcnt(0)
	global_store_short v[2:3], v10, off
.LBB9_32:                               ;   in Loop: Header=BB9_9 Depth=1
	s_or_b64 exec, exec, s[30:31]
	v_sub_u32_e32 v10, s21, v30
	v_ashrrev_i32_e32 v2, 31, v10
	v_lshrrev_b32_e32 v2, 29, v2
	v_add_u32_e32 v2, v10, v2
	v_ashrrev_i32_e32 v17, 3, v2
	v_ashrrev_i32_e32 v31, 31, v30
	v_cmp_gt_i32_e64 s[0:1], v17, v8
	s_and_saveexec_b64 s[30:31], s[0:1]
	s_cbranch_execz .LBB9_35
; %bb.33:                               ;   in Loop: Header=BB9_9 Depth=1
	v_lshlrev_b64 v[32:33], 1, v[30:31]
	v_lshl_add_u64 v[2:3], v[20:21], 0, v[32:33]
	v_lshl_add_u64 v[32:33], v[32:33], 0, v[28:29]
	;; [unrolled: 1-line block ×3, first 2 shown]
	s_mov_b64 s[34:35], 0
	v_mov_b32_e32 v27, v8
.LBB9_34:                               ;   Parent Loop BB9_9 Depth=1
                                        ; =>  This Inner Loop Header: Depth=2
	global_load_dwordx4 v[34:37], v[32:33], off offset:-8
	v_add_u32_e32 v27, 32, v27
	v_cmp_ge_i32_e64 s[0:1], v27, v17
	v_lshl_add_u64 v[32:33], v[32:33], 0, s[26:27]
	s_or_b64 s[34:35], s[0:1], s[34:35]
	s_waitcnt vmcnt(0)
	global_store_dwordx4 v[2:3], v[34:37], off offset:-8
	v_lshl_add_u64 v[2:3], v[2:3], 0, s[26:27]
	s_andn2_b64 exec, exec, s[34:35]
	s_cbranch_execnz .LBB9_34
.LBB9_35:                               ;   in Loop: Header=BB9_9 Depth=1
	s_or_b64 exec, exec, s[30:31]
	v_lshlrev_b32_e32 v3, 3, v17
	v_add_u32_e32 v2, v3, v8
	v_cmp_lt_i32_e64 s[0:1], v2, v10
	s_and_saveexec_b64 s[30:31], s[0:1]
	s_cbranch_execz .LBB9_43
; %bb.36:                               ;   in Loop: Header=BB9_9 Depth=1
	v_add_u32_e32 v17, v40, v3
	v_max_i32_e32 v17, v17, v10
	v_add_u32_e32 v17, v17, v9
	v_sub_u32_e32 v3, v17, v3
	v_cmp_lt_u32_e64 s[0:1], s41, v3
	s_mov_b64 s[36:37], -1
	s_and_saveexec_b64 s[34:35], s[0:1]
	s_cbranch_execz .LBB9_40
; %bb.37:                               ;   in Loop: Header=BB9_9 Depth=1
	v_lshrrev_b32_e32 v3, 5, v3
	v_lshlrev_b64 v[34:35], 1, v[30:31]
	v_add_u32_e32 v17, 1, v3
	v_lshl_add_u64 v[32:33], v[4:5], 0, v[34:35]
	v_add_u32_e32 v5, 0x60, v2
	v_add_u32_e32 v4, 64, v2
	v_lshl_add_u64 v[34:35], v[6:7], 0, v[34:35]
	v_and_b32_e32 v27, 0xffffffc, v17
	v_add_u32_e32 v3, 32, v2
	v_mov_b64_e32 v[6:7], v[4:5]
	s_mov_b64 s[36:37], 0
	v_mov_b32_e32 v36, v27
	v_mov_b64_e32 v[4:5], v[2:3]
.LBB9_38:                               ;   Parent Loop BB9_9 Depth=1
                                        ; =>  This Inner Loop Header: Depth=2
	v_ashrrev_i32_e32 v47, 31, v4
	v_mov_b32_e32 v46, v4
	v_ashrrev_i32_e32 v39, 31, v7
	v_mov_b32_e32 v38, v7
	;; [unrolled: 2-line block ×4, first 2 shown]
	v_lshlrev_b64 v[46:47], 1, v[46:47]
	v_lshlrev_b64 v[44:45], 1, v[44:45]
	;; [unrolled: 1-line block ×4, first 2 shown]
	v_lshl_add_u64 v[48:49], v[32:33], 0, v[46:47]
	v_lshl_add_u64 v[50:51], v[32:33], 0, v[44:45]
	;; [unrolled: 1-line block ×4, first 2 shown]
	global_load_ushort v3, v[48:49], off
	global_load_ushort v37, v[50:51], off
	global_load_ushort v41, v[52:53], off
	global_load_ushort v56, v[54:55], off
	v_add_u32_e32 v36, -4, v36
	v_cmp_eq_u32_e64 s[0:1], 0, v36
	v_add_u32_e32 v7, 0x80, v7
	v_add_u32_e32 v6, 0x80, v6
	;; [unrolled: 1-line block ×4, first 2 shown]
	v_lshl_add_u64 v[46:47], v[34:35], 0, v[46:47]
	s_or_b64 s[36:37], s[0:1], s[36:37]
	v_lshl_add_u64 v[44:45], v[34:35], 0, v[44:45]
	v_lshl_add_u64 v[42:43], v[34:35], 0, v[42:43]
	;; [unrolled: 1-line block ×3, first 2 shown]
	s_waitcnt vmcnt(3)
	global_store_short v[46:47], v3, off
	s_waitcnt vmcnt(3)
	global_store_short v[44:45], v37, off
	;; [unrolled: 2-line block ×4, first 2 shown]
	s_andn2_b64 exec, exec, s[36:37]
	s_cbranch_execnz .LBB9_38
; %bb.39:                               ;   in Loop: Header=BB9_9 Depth=1
	s_or_b64 exec, exec, s[36:37]
	v_cmp_ne_u32_e64 s[0:1], v17, v27
	v_lshl_add_u32 v2, v27, 5, v2
	s_orn2_b64 s[36:37], s[0:1], exec
.LBB9_40:                               ;   in Loop: Header=BB9_9 Depth=1
	s_or_b64 exec, exec, s[34:35]
	s_and_b64 exec, exec, s[36:37]
	s_cbranch_execz .LBB9_43
; %bb.41:                               ;   in Loop: Header=BB9_9 Depth=1
	v_ashrrev_i32_e32 v3, 31, v2
	v_lshlrev_b64 v[4:5], 1, v[2:3]
	v_lshl_add_u64 v[6:7], v[30:31], 1, v[4:5]
	v_lshl_add_u64 v[4:5], v[6:7], 0, v[28:29]
	v_lshl_add_u64 v[4:5], s[14:15], 0, v[4:5]
	v_lshl_add_u64 v[6:7], v[24:25], 0, v[6:7]
	s_mov_b64 s[34:35], 0
.LBB9_42:                               ;   Parent Loop BB9_9 Depth=1
                                        ; =>  This Inner Loop Header: Depth=2
	global_load_ushort v3, v[4:5], off
	v_add_u32_e32 v2, 32, v2
	v_cmp_ge_i32_e64 s[0:1], v2, v10
	v_lshl_add_u64 v[4:5], v[4:5], 0, 64
	s_or_b64 s[34:35], s[0:1], s[34:35]
	s_waitcnt vmcnt(0)
	global_store_short v[6:7], v3, off
	v_lshl_add_u64 v[6:7], v[6:7], 0, 64
	s_andn2_b64 exec, exec, s[34:35]
	s_cbranch_execnz .LBB9_42
.LBB9_43:                               ;   in Loop: Header=BB9_9 Depth=1
	s_or_b64 exec, exec, s[30:31]
                                        ; implicit-def: $vgpr28_vgpr29
.LBB9_44:                               ;   in Loop: Header=BB9_9 Depth=1
	s_andn2_saveexec_b64 s[28:29], s[28:29]
	s_cbranch_execz .LBB9_8
; %bb.45:                               ;   in Loop: Header=BB9_9 Depth=1
	s_and_saveexec_b64 s[30:31], vcc
	s_cbranch_execz .LBB9_7
; %bb.46:                               ;   in Loop: Header=BB9_9 Depth=1
	v_lshl_add_u64 v[2:3], v[22:23], 0, v[28:29]
	s_mov_b64 s[34:35], 0
	s_mov_b64 s[36:37], 0
	v_mov_b32_e32 v4, v8
.LBB9_47:                               ;   Parent Loop BB9_9 Depth=1
                                        ; =>  This Inner Loop Header: Depth=2
	v_lshl_add_u64 v[6:7], v[2:3], 0, s[36:37]
	global_load_dwordx4 v[28:31], v[6:7], off offset:-8
	v_lshl_add_u64 v[6:7], v[20:21], 0, s[36:37]
	v_add_u32_e32 v4, 32, v4
	s_add_u32 s36, s36, 0x200
	s_addc_u32 s37, s37, 0
	v_cmp_le_i32_e64 s[0:1], s39, v4
	s_or_b64 s[34:35], s[0:1], s[34:35]
	s_waitcnt vmcnt(0)
	global_store_dwordx4 v[6:7], v[28:31], off offset:-8
	s_andn2_b64 exec, exec, s[34:35]
	s_cbranch_execnz .LBB9_47
	s_branch .LBB9_7
.LBB9_48:
	s_or_b64 exec, exec, s[22:23]
	s_mov_b64 s[22:23], 0
.LBB9_49:
	s_andn2_b64 vcc, exec, s[22:23]
	s_cbranch_vccnz .LBB9_91
; %bb.50:
	s_and_b32 s0, s10, 15
	s_mov_b32 s1, 0
	s_mul_i32 s22, s21, s20
	s_cmp_lg_u64 s[0:1], 0
	s_cselect_b64 s[0:1], -1, 0
	s_and_b32 s12, s22, 7
	s_cmp_eq_u32 s12, 0
	s_cselect_b64 s[8:9], -1, 0
	s_cmp_lg_u32 s12, 0
	s_cselect_b64 s[12:13], -1, 0
	s_or_b64 s[12:13], s[0:1], s[12:13]
	s_mov_b64 s[0:1], -1
	s_and_b64 vcc, exec, s[12:13]
	s_cbranch_vccz .LBB9_66
; %bb.51:
	s_sub_i32 s0, 0, s10
	s_bfe_u32 s0, s0, 0x30001
	s_min_i32 s12, s0, s22
	v_cmp_gt_i32_e32 vcc, s12, v0
	s_and_saveexec_b64 s[0:1], vcc
	s_cbranch_execz .LBB9_54
; %bb.52:
	v_lshlrev_b32_e32 v2, 1, v0
	s_mov_b32 s15, 0
	v_mov_b32_e32 v3, 0
	s_lshl_b32 s14, s33, 1
	s_mov_b64 s[16:17], 0
	v_mov_b32_e32 v1, v0
.LBB9_53:                               ; =>This Inner Loop Header: Depth=1
	v_lshl_add_u64 v[4:5], s[10:11], 0, v[2:3]
	global_load_ushort v6, v[4:5], off
	v_add_u32_e32 v1, s33, v1
	v_cmp_le_i32_e32 vcc, s12, v1
	v_lshl_add_u64 v[4:5], s[6:7], 0, v[2:3]
	v_lshl_add_u64 v[2:3], v[2:3], 0, s[14:15]
	s_or_b64 s[16:17], vcc, s[16:17]
	s_waitcnt vmcnt(0)
	global_store_short v[4:5], v6, off
	s_andn2_b64 exec, exec, s[16:17]
	s_cbranch_execnz .LBB9_53
.LBB9_54:
	s_or_b64 exec, exec, s[0:1]
	s_sub_i32 s23, s22, s12
	s_ashr_i32 s0, s23, 31
	s_lshr_b32 s0, s0, 29
	s_add_i32 s0, s23, s0
	s_ashr_i32 s18, s0, 3
	s_ashr_i32 s13, s12, 31
	v_cmp_gt_i32_e32 vcc, s18, v0
	s_and_saveexec_b64 s[0:1], vcc
	s_cbranch_execz .LBB9_57
; %bb.55:
	v_lshlrev_b32_e32 v2, 4, v0
	v_mov_b32_e32 v3, 0
	v_lshl_add_u64 v[2:3], s[12:13], 1, v[2:3]
	s_mov_b32 s15, 0
	v_lshl_add_u64 v[2:3], v[2:3], 0, 8
	s_lshl_b32 s14, s33, 4
	s_mov_b64 s[16:17], 0
	v_mov_b32_e32 v1, v0
.LBB9_56:                               ; =>This Inner Loop Header: Depth=1
	v_lshl_add_u64 v[4:5], s[10:11], 0, v[2:3]
	global_load_dwordx4 v[4:7], v[4:5], off offset:-8
	v_add_u32_e32 v1, s33, v1
	v_cmp_le_i32_e32 vcc, s18, v1
	v_lshl_add_u64 v[8:9], s[6:7], 0, v[2:3]
	v_lshl_add_u64 v[2:3], v[2:3], 0, s[14:15]
	s_or_b64 s[16:17], vcc, s[16:17]
	s_waitcnt vmcnt(0)
	global_store_dwordx4 v[8:9], v[4:7], off offset:-8
	s_andn2_b64 exec, exec, s[16:17]
	s_cbranch_execnz .LBB9_56
.LBB9_57:
	s_or_b64 exec, exec, s[0:1]
	v_lshl_add_u32 v2, s18, 3, v0
	v_cmp_gt_i32_e32 vcc, s23, v2
	s_and_saveexec_b64 s[14:15], vcc
	s_cbranch_execz .LBB9_65
; %bb.58:
	v_cvt_f32_u32_e32 v1, s33
	v_add_u32_e32 v3, s33, v2
	v_mov_b32_e32 v4, s33
	s_sub_i32 s16, 0, s33
	v_rcp_iflag_f32_e32 v1, v1
	v_cmp_gt_i32_e32 vcc, s23, v3
	v_max_i32_e32 v5, s23, v3
	s_cmp_eq_u32 s33, 1
	v_mul_f32_e32 v1, 0x4f7ffffe, v1
	v_cvt_u32_f32_e32 v1, v1
	v_addc_co_u32_e64 v3, s[0:1], v2, v4, vcc
	v_sub_u32_e32 v3, v5, v3
	v_mul_lo_u32 v4, s16, v1
	v_mul_hi_u32 v4, v1, v4
	v_add_u32_e32 v1, v1, v4
	v_mul_hi_u32 v1, v3, v1
	v_mul_lo_u32 v4, v1, s33
	v_sub_u32_e32 v3, v3, v4
	v_add_u32_e32 v5, 1, v1
	v_cmp_le_u32_e64 s[0:1], s33, v3
	v_subrev_u32_e32 v4, s33, v3
	s_mov_b64 s[16:17], -1
	v_cndmask_b32_e64 v1, v1, v5, s[0:1]
	v_cndmask_b32_e64 v3, v3, v4, s[0:1]
	v_add_u32_e32 v4, 1, v1
	v_cmp_le_u32_e64 s[0:1], s33, v3
	s_nop 1
	v_cndmask_b32_e64 v1, v1, v4, s[0:1]
	v_addc_co_u32_e32 v1, vcc, 1, v1, vcc
	v_cmp_lt_u32_e32 vcc, 31, v1
	s_cselect_b64 s[0:1], -1, 0
	s_and_b64 s[18:19], vcc, s[0:1]
	s_and_saveexec_b64 s[0:1], s[18:19]
	s_cbranch_execz .LBB9_62
; %bb.59:
	s_lshl_b64 s[18:19], s[12:13], 1
	s_add_u32 s16, s10, s18
	s_addc_u32 s17, s11, s19
	s_add_u32 s18, s6, s18
	v_and_b32_e32 v3, 0xffffffe0, v1
	s_addc_u32 s19, s7, s19
	s_mov_b64 s[20:21], 0
	v_mov_b32_e32 v4, v2
	v_mov_b32_e32 v6, v3
.LBB9_60:                               ; =>This Inner Loop Header: Depth=1
	v_ashrrev_i32_e32 v5, 31, v4
	v_lshlrev_b64 v[24:25], 1, v[4:5]
	v_lshl_add_u64 v[26:27], s[16:17], 0, v[24:25]
	global_load_dwordx4 v[8:11], v[26:27], off
	global_load_dwordx4 v[12:15], v[26:27], off offset:16
	global_load_dwordx4 v[16:19], v[26:27], off offset:32
	;; [unrolled: 1-line block ×3, first 2 shown]
	v_subrev_u32_e32 v6, 32, v6
	v_cmp_eq_u32_e32 vcc, 0, v6
	v_lshl_add_u64 v[24:25], s[18:19], 0, v[24:25]
	s_or_b64 s[20:21], vcc, s[20:21]
	v_add_u32_e32 v4, 32, v4
	s_waitcnt vmcnt(3)
	global_store_dwordx4 v[24:25], v[8:11], off
	s_waitcnt vmcnt(3)
	global_store_dwordx4 v[24:25], v[12:15], off offset:16
	s_waitcnt vmcnt(3)
	global_store_dwordx4 v[24:25], v[16:19], off offset:32
	;; [unrolled: 2-line block ×3, first 2 shown]
	s_andn2_b64 exec, exec, s[20:21]
	s_cbranch_execnz .LBB9_60
; %bb.61:
	s_or_b64 exec, exec, s[20:21]
	v_cmp_ne_u32_e32 vcc, v1, v3
	v_add_u32_e32 v2, v2, v3
	s_orn2_b64 s[16:17], vcc, exec
.LBB9_62:
	s_or_b64 exec, exec, s[0:1]
	s_and_b64 exec, exec, s[16:17]
	s_cbranch_execz .LBB9_65
; %bb.63:
	v_ashrrev_i32_e32 v3, 31, v2
	v_lshlrev_b64 v[4:5], 1, v[2:3]
	v_lshl_add_u64 v[4:5], s[12:13], 1, v[4:5]
	s_lshl_b32 s0, s33, 1
	s_mov_b32 s1, 0
	s_mov_b64 s[12:13], 0
.LBB9_64:                               ; =>This Inner Loop Header: Depth=1
	v_lshl_add_u64 v[6:7], s[10:11], 0, v[4:5]
	global_load_ushort v1, v[6:7], off
	v_add_u32_e32 v2, s33, v2
	v_cmp_le_i32_e32 vcc, s23, v2
	v_lshl_add_u64 v[6:7], s[6:7], 0, v[4:5]
	v_lshl_add_u64 v[4:5], v[4:5], 0, s[0:1]
	s_or_b64 s[12:13], vcc, s[12:13]
	s_waitcnt vmcnt(0)
	global_store_short v[6:7], v1, off
	s_andn2_b64 exec, exec, s[12:13]
	s_cbranch_execnz .LBB9_64
.LBB9_65:
	s_or_b64 exec, exec, s[14:15]
	s_mov_b64 s[0:1], 0
.LBB9_66:
	s_and_b64 vcc, exec, s[0:1]
	s_cbranch_vccz .LBB9_71
; %bb.67:
	s_ashr_i32 s16, s22, 3
	v_cmp_gt_i32_e32 vcc, s16, v0
	s_and_saveexec_b64 s[0:1], vcc
	s_cbranch_execz .LBB9_70
; %bb.68:
	v_lshl_or_b32 v2, v0, 4, 8
	v_mov_b32_e32 v3, 0
	s_lshl_b32 s12, s33, 4
	s_mov_b32 s13, 0
	s_mov_b64 s[14:15], 0
	v_mov_b32_e32 v1, v0
.LBB9_69:                               ; =>This Inner Loop Header: Depth=1
	v_lshl_add_u64 v[4:5], s[10:11], 0, v[2:3]
	global_load_dwordx4 v[4:7], v[4:5], off offset:-8
	v_add_u32_e32 v1, s33, v1
	v_cmp_le_i32_e32 vcc, s16, v1
	v_lshl_add_u64 v[8:9], s[6:7], 0, v[2:3]
	v_lshl_add_u64 v[2:3], v[2:3], 0, s[12:13]
	s_or_b64 s[14:15], vcc, s[14:15]
	s_waitcnt vmcnt(0)
	global_store_dwordx4 v[8:9], v[4:7], off offset:-8
	s_andn2_b64 exec, exec, s[14:15]
	s_cbranch_execnz .LBB9_69
.LBB9_70:
	s_or_b64 exec, exec, s[0:1]
.LBB9_71:
	s_and_b32 s0, s2, 15
	s_mov_b32 s1, 0
	s_cmp_lg_u64 s[0:1], 0
	s_cselect_b64 s[6:7], -1, 0
	s_xor_b64 s[8:9], s[8:9], -1
	s_or_b64 s[6:7], s[8:9], s[6:7]
	s_mov_b64 s[0:1], -1
	s_and_b64 vcc, exec, s[6:7]
	s_cbranch_vccz .LBB9_87
; %bb.72:
	s_sub_i32 s0, 0, s2
	s_bfe_u32 s0, s0, 0x30001
	s_min_i32 s6, s0, s22
	v_cmp_gt_i32_e32 vcc, s6, v0
	s_and_saveexec_b64 s[0:1], vcc
	s_cbranch_execz .LBB9_75
; %bb.73:
	v_lshlrev_b32_e32 v2, 1, v0
	s_mov_b32 s9, 0
	v_mov_b32_e32 v3, 0
	s_lshl_b32 s8, s33, 1
	s_mov_b64 s[10:11], 0
	v_mov_b32_e32 v1, v0
.LBB9_74:                               ; =>This Inner Loop Header: Depth=1
	v_lshl_add_u64 v[4:5], s[2:3], 0, v[2:3]
	global_load_ushort v6, v[4:5], off
	v_add_u32_e32 v1, s33, v1
	v_cmp_le_i32_e32 vcc, s6, v1
	v_lshl_add_u64 v[4:5], s[4:5], 0, v[2:3]
	v_lshl_add_u64 v[2:3], v[2:3], 0, s[8:9]
	s_or_b64 s[10:11], vcc, s[10:11]
	s_waitcnt vmcnt(0)
	global_store_short v[4:5], v6, off
	s_andn2_b64 exec, exec, s[10:11]
	s_cbranch_execnz .LBB9_74
.LBB9_75:
	s_or_b64 exec, exec, s[0:1]
	s_sub_i32 s16, s22, s6
	s_ashr_i32 s0, s16, 31
	s_lshr_b32 s0, s0, 29
	s_add_i32 s0, s16, s0
	s_ashr_i32 s12, s0, 3
	s_ashr_i32 s7, s6, 31
	v_cmp_gt_i32_e32 vcc, s12, v0
	s_and_saveexec_b64 s[0:1], vcc
	s_cbranch_execz .LBB9_78
; %bb.76:
	v_lshlrev_b32_e32 v2, 4, v0
	v_mov_b32_e32 v3, 0
	v_lshl_add_u64 v[2:3], s[6:7], 1, v[2:3]
	s_mov_b32 s9, 0
	v_lshl_add_u64 v[2:3], v[2:3], 0, 8
	s_lshl_b32 s8, s33, 4
	s_mov_b64 s[10:11], 0
	v_mov_b32_e32 v1, v0
.LBB9_77:                               ; =>This Inner Loop Header: Depth=1
	v_lshl_add_u64 v[4:5], s[2:3], 0, v[2:3]
	global_load_dwordx4 v[4:7], v[4:5], off offset:-8
	v_add_u32_e32 v1, s33, v1
	v_cmp_le_i32_e32 vcc, s12, v1
	v_lshl_add_u64 v[8:9], s[4:5], 0, v[2:3]
	v_lshl_add_u64 v[2:3], v[2:3], 0, s[8:9]
	s_or_b64 s[10:11], vcc, s[10:11]
	s_waitcnt vmcnt(0)
	global_store_dwordx4 v[8:9], v[4:7], off offset:-8
	s_andn2_b64 exec, exec, s[10:11]
	s_cbranch_execnz .LBB9_77
.LBB9_78:
	s_or_b64 exec, exec, s[0:1]
	v_lshl_add_u32 v2, s12, 3, v0
	v_cmp_gt_i32_e32 vcc, s16, v2
	s_and_saveexec_b64 s[8:9], vcc
	s_cbranch_execz .LBB9_86
; %bb.79:
	v_cvt_f32_u32_e32 v1, s33
	v_add_u32_e32 v3, s33, v2
	v_mov_b32_e32 v4, s33
	s_sub_i32 s10, 0, s33
	v_rcp_iflag_f32_e32 v1, v1
	v_cmp_gt_i32_e32 vcc, s16, v3
	v_max_i32_e32 v5, s16, v3
	s_cmp_eq_u32 s33, 1
	v_mul_f32_e32 v1, 0x4f7ffffe, v1
	v_cvt_u32_f32_e32 v1, v1
	v_addc_co_u32_e64 v3, s[0:1], v2, v4, vcc
	v_sub_u32_e32 v3, v5, v3
	v_mul_lo_u32 v4, s10, v1
	v_mul_hi_u32 v4, v1, v4
	v_add_u32_e32 v1, v1, v4
	v_mul_hi_u32 v1, v3, v1
	v_mul_lo_u32 v4, v1, s33
	v_sub_u32_e32 v3, v3, v4
	v_add_u32_e32 v5, 1, v1
	v_cmp_le_u32_e64 s[0:1], s33, v3
	v_subrev_u32_e32 v4, s33, v3
	s_mov_b64 s[10:11], -1
	v_cndmask_b32_e64 v1, v1, v5, s[0:1]
	v_cndmask_b32_e64 v3, v3, v4, s[0:1]
	v_add_u32_e32 v4, 1, v1
	v_cmp_le_u32_e64 s[0:1], s33, v3
	s_nop 1
	v_cndmask_b32_e64 v1, v1, v4, s[0:1]
	v_addc_co_u32_e32 v1, vcc, 1, v1, vcc
	v_cmp_lt_u32_e32 vcc, 31, v1
	s_cselect_b64 s[0:1], -1, 0
	s_and_b64 s[12:13], vcc, s[0:1]
	s_and_saveexec_b64 s[0:1], s[12:13]
	s_cbranch_execz .LBB9_83
; %bb.80:
	s_lshl_b64 s[12:13], s[6:7], 1
	s_add_u32 s10, s2, s12
	s_addc_u32 s11, s3, s13
	s_add_u32 s12, s4, s12
	v_and_b32_e32 v3, 0xffffffe0, v1
	s_addc_u32 s13, s5, s13
	s_mov_b64 s[14:15], 0
	v_mov_b32_e32 v4, v2
	v_mov_b32_e32 v6, v3
.LBB9_81:                               ; =>This Inner Loop Header: Depth=1
	v_ashrrev_i32_e32 v5, 31, v4
	v_lshlrev_b64 v[24:25], 1, v[4:5]
	v_lshl_add_u64 v[26:27], s[10:11], 0, v[24:25]
	global_load_dwordx4 v[8:11], v[26:27], off
	global_load_dwordx4 v[12:15], v[26:27], off offset:16
	global_load_dwordx4 v[16:19], v[26:27], off offset:32
	;; [unrolled: 1-line block ×3, first 2 shown]
	v_subrev_u32_e32 v6, 32, v6
	v_cmp_eq_u32_e32 vcc, 0, v6
	v_lshl_add_u64 v[24:25], s[12:13], 0, v[24:25]
	s_or_b64 s[14:15], vcc, s[14:15]
	v_add_u32_e32 v4, 32, v4
	s_waitcnt vmcnt(3)
	global_store_dwordx4 v[24:25], v[8:11], off
	s_waitcnt vmcnt(3)
	global_store_dwordx4 v[24:25], v[12:15], off offset:16
	s_waitcnt vmcnt(3)
	global_store_dwordx4 v[24:25], v[16:19], off offset:32
	s_waitcnt vmcnt(3)
	global_store_dwordx4 v[24:25], v[20:23], off offset:48
	s_andn2_b64 exec, exec, s[14:15]
	s_cbranch_execnz .LBB9_81
; %bb.82:
	s_or_b64 exec, exec, s[14:15]
	v_cmp_ne_u32_e32 vcc, v1, v3
	v_add_u32_e32 v2, v2, v3
	s_orn2_b64 s[10:11], vcc, exec
.LBB9_83:
	s_or_b64 exec, exec, s[0:1]
	s_and_b64 exec, exec, s[10:11]
	s_cbranch_execz .LBB9_86
; %bb.84:
	v_ashrrev_i32_e32 v3, 31, v2
	v_lshlrev_b64 v[4:5], 1, v[2:3]
	v_lshl_add_u64 v[4:5], s[6:7], 1, v[4:5]
	s_lshl_b32 s0, s33, 1
	s_mov_b32 s1, 0
	s_mov_b64 s[6:7], 0
.LBB9_85:                               ; =>This Inner Loop Header: Depth=1
	v_lshl_add_u64 v[6:7], s[2:3], 0, v[4:5]
	global_load_ushort v1, v[6:7], off
	v_add_u32_e32 v2, s33, v2
	v_cmp_le_i32_e32 vcc, s16, v2
	v_lshl_add_u64 v[6:7], s[4:5], 0, v[4:5]
	v_lshl_add_u64 v[4:5], v[4:5], 0, s[0:1]
	s_or_b64 s[6:7], vcc, s[6:7]
	s_waitcnt vmcnt(0)
	global_store_short v[6:7], v1, off
	s_andn2_b64 exec, exec, s[6:7]
	s_cbranch_execnz .LBB9_85
.LBB9_86:
	s_or_b64 exec, exec, s[8:9]
	s_mov_b64 s[0:1], 0
.LBB9_87:
	s_and_b64 vcc, exec, s[0:1]
	s_cbranch_vccz .LBB9_91
; %bb.88:
	s_ashr_i32 s8, s22, 3
	v_cmp_gt_i32_e32 vcc, s8, v0
	s_and_saveexec_b64 s[0:1], vcc
	s_cbranch_execz .LBB9_91
; %bb.89:
	v_lshl_or_b32 v2, v0, 4, 8
	v_mov_b32_e32 v3, 0
	s_lshl_b32 s0, s33, 4
	s_mov_b32 s1, 0
	s_mov_b64 s[6:7], 0
.LBB9_90:                               ; =>This Inner Loop Header: Depth=1
	v_lshl_add_u64 v[4:5], s[2:3], 0, v[2:3]
	global_load_dwordx4 v[4:7], v[4:5], off offset:-8
	v_add_u32_e32 v0, s33, v0
	v_cmp_le_i32_e32 vcc, s8, v0
	v_lshl_add_u64 v[8:9], s[4:5], 0, v[2:3]
	v_lshl_add_u64 v[2:3], v[2:3], 0, s[0:1]
	s_or_b64 s[6:7], vcc, s[6:7]
	s_waitcnt vmcnt(0)
	global_store_dwordx4 v[8:9], v[4:7], off offset:-8
	s_andn2_b64 exec, exec, s[6:7]
	s_cbranch_execnz .LBB9_90
.LBB9_91:
	s_endpgm
.LBB9_92:
                                        ; implicit-def: $sgpr28_sgpr29
	s_branch .LBB9_3
	.section	.rodata,"a",@progbits
	.p2align	6, 0x0
	.amdhsa_kernel _ZN4vllm30reshape_and_cache_flash_kernelI14__hip_bfloat16S1_LNS_18Fp8KVCacheDataTypeE0EEEvPKT_S5_PT0_S7_PKlllllliiiPKfSB_i
		.amdhsa_group_segment_fixed_size 0
		.amdhsa_private_segment_fixed_size 0
		.amdhsa_kernarg_size 376
		.amdhsa_user_sgpr_count 2
		.amdhsa_user_sgpr_dispatch_ptr 0
		.amdhsa_user_sgpr_queue_ptr 0
		.amdhsa_user_sgpr_kernarg_segment_ptr 1
		.amdhsa_user_sgpr_dispatch_id 0
		.amdhsa_user_sgpr_kernarg_preload_length 0
		.amdhsa_user_sgpr_kernarg_preload_offset 0
		.amdhsa_user_sgpr_private_segment_size 0
		.amdhsa_uses_dynamic_stack 0
		.amdhsa_enable_private_segment 0
		.amdhsa_system_sgpr_workgroup_id_x 1
		.amdhsa_system_sgpr_workgroup_id_y 0
		.amdhsa_system_sgpr_workgroup_id_z 0
		.amdhsa_system_sgpr_workgroup_info 0
		.amdhsa_system_vgpr_workitem_id 0
		.amdhsa_next_free_vgpr 61
		.amdhsa_next_free_sgpr 42
		.amdhsa_accum_offset 64
		.amdhsa_reserve_vcc 1
		.amdhsa_float_round_mode_32 0
		.amdhsa_float_round_mode_16_64 0
		.amdhsa_float_denorm_mode_32 3
		.amdhsa_float_denorm_mode_16_64 3
		.amdhsa_dx10_clamp 1
		.amdhsa_ieee_mode 1
		.amdhsa_fp16_overflow 0
		.amdhsa_tg_split 0
		.amdhsa_exception_fp_ieee_invalid_op 0
		.amdhsa_exception_fp_denorm_src 0
		.amdhsa_exception_fp_ieee_div_zero 0
		.amdhsa_exception_fp_ieee_overflow 0
		.amdhsa_exception_fp_ieee_underflow 0
		.amdhsa_exception_fp_ieee_inexact 0
		.amdhsa_exception_int_div_zero 0
	.end_amdhsa_kernel
	.section	.text._ZN4vllm30reshape_and_cache_flash_kernelI14__hip_bfloat16S1_LNS_18Fp8KVCacheDataTypeE0EEEvPKT_S5_PT0_S7_PKlllllliiiPKfSB_i,"axG",@progbits,_ZN4vllm30reshape_and_cache_flash_kernelI14__hip_bfloat16S1_LNS_18Fp8KVCacheDataTypeE0EEEvPKT_S5_PT0_S7_PKlllllliiiPKfSB_i,comdat
.Lfunc_end9:
	.size	_ZN4vllm30reshape_and_cache_flash_kernelI14__hip_bfloat16S1_LNS_18Fp8KVCacheDataTypeE0EEEvPKT_S5_PT0_S7_PKlllllliiiPKfSB_i, .Lfunc_end9-_ZN4vllm30reshape_and_cache_flash_kernelI14__hip_bfloat16S1_LNS_18Fp8KVCacheDataTypeE0EEEvPKT_S5_PT0_S7_PKlllllliiiPKfSB_i
                                        ; -- End function
	.section	.AMDGPU.csdata,"",@progbits
; Kernel info:
; codeLenInByte = 5104
; NumSgprs: 48
; NumVgprs: 61
; NumAgprs: 0
; TotalNumVgprs: 61
; ScratchSize: 0
; MemoryBound: 0
; FloatMode: 240
; IeeeMode: 1
; LDSByteSize: 0 bytes/workgroup (compile time only)
; SGPRBlocks: 5
; VGPRBlocks: 7
; NumSGPRsForWavesPerEU: 48
; NumVGPRsForWavesPerEU: 61
; AccumOffset: 64
; Occupancy: 8
; WaveLimiterHint : 1
; COMPUTE_PGM_RSRC2:SCRATCH_EN: 0
; COMPUTE_PGM_RSRC2:USER_SGPR: 2
; COMPUTE_PGM_RSRC2:TRAP_HANDLER: 0
; COMPUTE_PGM_RSRC2:TGID_X_EN: 1
; COMPUTE_PGM_RSRC2:TGID_Y_EN: 0
; COMPUTE_PGM_RSRC2:TGID_Z_EN: 0
; COMPUTE_PGM_RSRC2:TIDIG_COMP_CNT: 0
; COMPUTE_PGM_RSRC3_GFX90A:ACCUM_OFFSET: 15
; COMPUTE_PGM_RSRC3_GFX90A:TG_SPLIT: 0
	.section	.text._ZN4vllm30reshape_and_cache_flash_kernelIfhLNS_18Fp8KVCacheDataTypeE1EEEvPKT_S4_PT0_S6_PKlllllliiiPKfSA_i,"axG",@progbits,_ZN4vllm30reshape_and_cache_flash_kernelIfhLNS_18Fp8KVCacheDataTypeE1EEEvPKT_S4_PT0_S6_PKlllllliiiPKfSA_i,comdat
	.protected	_ZN4vllm30reshape_and_cache_flash_kernelIfhLNS_18Fp8KVCacheDataTypeE1EEEvPKT_S4_PT0_S6_PKlllllliiiPKfSA_i ; -- Begin function _ZN4vllm30reshape_and_cache_flash_kernelIfhLNS_18Fp8KVCacheDataTypeE1EEEvPKT_S4_PT0_S6_PKlllllliiiPKfSA_i
	.globl	_ZN4vllm30reshape_and_cache_flash_kernelIfhLNS_18Fp8KVCacheDataTypeE1EEEvPKT_S4_PT0_S6_PKlllllliiiPKfSA_i
	.p2align	8
	.type	_ZN4vllm30reshape_and_cache_flash_kernelIfhLNS_18Fp8KVCacheDataTypeE1EEEvPKT_S4_PT0_S6_PKlllllliiiPKfSA_i,@function
_ZN4vllm30reshape_and_cache_flash_kernelIfhLNS_18Fp8KVCacheDataTypeE1EEEvPKT_S4_PT0_S6_PKlllllliiiPKfSA_i: ; @_ZN4vllm30reshape_and_cache_flash_kernelIfhLNS_18Fp8KVCacheDataTypeE1EEEvPKT_S4_PT0_S6_PKlllllliiiPKfSA_i
; %bb.0:
	s_load_dwordx2 s[4:5], s[0:1], 0x20
	s_mov_b32 s3, 0
	s_lshl_b64 s[6:7], s[2:3], 3
	s_waitcnt lgkmcnt(0)
	s_add_u32 s4, s4, s6
	s_addc_u32 s5, s5, s7
	s_load_dwordx2 s[6:7], s[4:5], 0x0
	s_waitcnt lgkmcnt(0)
	v_cmp_lt_i64_e64 s[4:5], s[6:7], 0
	s_and_b64 vcc, exec, s[4:5]
	s_cbranch_vccnz .LBB10_71
; %bb.1:
	s_load_dwordx4 s[28:31], s[0:1], 0x50
	s_load_dwordx8 s[12:19], s[0:1], 0x0
	s_waitcnt lgkmcnt(0)
	s_ashr_i32 s31, s30, 31
	s_or_b64 s[4:5], s[6:7], s[30:31]
	s_mov_b32 s4, s3
	s_cmp_lg_u64 s[4:5], 0
	s_cbranch_scc0 .LBB10_72
; %bb.2:
	s_add_u32 s4, s30, s31
	s_mov_b32 s10, s31
	s_mov_b32 s11, s31
	s_addc_u32 s5, s31, s31
	s_xor_b64 s[20:21], s[4:5], s[10:11]
	v_cvt_f32_u32_e32 v1, s20
	v_cvt_f32_u32_e32 v2, s21
	s_sub_u32 s3, 0, s20
	s_subb_u32 s4, 0, s21
	v_fmamk_f32 v1, v2, 0x4f800000, v1
	v_rcp_f32_e32 v1, v1
	s_nop 0
	v_mul_f32_e32 v1, 0x5f7ffffc, v1
	v_mul_f32_e32 v2, 0x2f800000, v1
	v_trunc_f32_e32 v2, v2
	v_fmamk_f32 v1, v2, 0xcf800000, v1
	v_cvt_u32_f32_e32 v2, v2
	v_cvt_u32_f32_e32 v1, v1
	v_readfirstlane_b32 s5, v2
	v_readfirstlane_b32 s22, v1
	s_mul_i32 s23, s3, s5
	s_mul_hi_u32 s25, s3, s22
	s_mul_i32 s24, s4, s22
	s_add_i32 s23, s25, s23
	s_add_i32 s23, s23, s24
	s_mul_i32 s26, s3, s22
	s_mul_hi_u32 s24, s22, s23
	s_mul_i32 s25, s22, s23
	s_mul_hi_u32 s22, s22, s26
	s_add_u32 s22, s22, s25
	s_addc_u32 s24, 0, s24
	s_mul_hi_u32 s27, s5, s26
	s_mul_i32 s26, s5, s26
	s_add_u32 s22, s22, s26
	s_mul_hi_u32 s25, s5, s23
	s_addc_u32 s22, s24, s27
	s_addc_u32 s24, s25, 0
	s_mul_i32 s23, s5, s23
	s_add_u32 s22, s22, s23
	s_addc_u32 s23, 0, s24
	v_add_co_u32_e32 v1, vcc, s22, v1
	s_cmp_lg_u64 vcc, 0
	s_addc_u32 s5, s5, s23
	v_readfirstlane_b32 s23, v1
	s_mul_i32 s22, s3, s5
	s_mul_hi_u32 s24, s3, s23
	s_add_i32 s22, s24, s22
	s_mul_i32 s4, s4, s23
	s_add_i32 s22, s22, s4
	s_mul_i32 s3, s3, s23
	s_mul_hi_u32 s24, s5, s3
	s_mul_i32 s25, s5, s3
	s_mul_i32 s27, s23, s22
	s_mul_hi_u32 s3, s23, s3
	s_mul_hi_u32 s26, s23, s22
	s_add_u32 s3, s3, s27
	s_addc_u32 s23, 0, s26
	s_add_u32 s3, s3, s25
	s_mul_hi_u32 s4, s5, s22
	s_addc_u32 s3, s23, s24
	s_addc_u32 s4, s4, 0
	s_mul_i32 s22, s5, s22
	s_add_u32 s3, s3, s22
	s_addc_u32 s4, 0, s4
	v_add_co_u32_e32 v1, vcc, s3, v1
	s_cmp_lg_u64 vcc, 0
	s_addc_u32 s3, s5, s4
	s_ashr_i32 s22, s7, 31
	s_add_u32 s4, s6, s22
	s_mov_b32 s23, s22
	s_addc_u32 s5, s7, s22
	s_xor_b64 s[24:25], s[4:5], s[22:23]
	v_readfirstlane_b32 s26, v1
	s_mul_i32 s5, s24, s3
	s_mul_hi_u32 s27, s24, s26
	s_mul_hi_u32 s4, s24, s3
	s_add_u32 s5, s27, s5
	s_addc_u32 s4, 0, s4
	s_mul_hi_u32 s33, s25, s26
	s_mul_i32 s26, s25, s26
	s_add_u32 s5, s5, s26
	s_mul_hi_u32 s27, s25, s3
	s_addc_u32 s4, s4, s33
	s_addc_u32 s5, s27, 0
	s_mul_i32 s3, s25, s3
	s_add_u32 s3, s4, s3
	s_addc_u32 s26, 0, s5
	s_mul_i32 s4, s20, s26
	s_mul_hi_u32 s5, s20, s3
	s_add_i32 s4, s5, s4
	s_mul_i32 s5, s21, s3
	s_add_i32 s27, s4, s5
	s_mul_i32 s5, s20, s3
	v_mov_b32_e32 v1, s5
	s_sub_i32 s4, s25, s27
	v_sub_co_u32_e32 v1, vcc, s24, v1
	s_cmp_lg_u64 vcc, 0
	s_subb_u32 s24, s4, s21
	v_subrev_co_u32_e64 v2, s[4:5], s20, v1
	s_cmp_lg_u64 s[4:5], 0
	s_subb_u32 s4, s24, 0
	s_cmp_ge_u32 s4, s21
	v_readfirstlane_b32 s24, v2
	s_cselect_b32 s5, -1, 0
	s_cmp_ge_u32 s24, s20
	s_cselect_b32 s24, -1, 0
	s_cmp_eq_u32 s4, s21
	s_cselect_b32 s4, s24, s5
	s_add_u32 s5, s3, 1
	s_addc_u32 s24, s26, 0
	s_add_u32 s33, s3, 2
	s_addc_u32 s34, s26, 0
	s_cmp_lg_u32 s4, 0
	s_cselect_b32 s4, s33, s5
	s_cselect_b32 s5, s34, s24
	s_cmp_lg_u64 vcc, 0
	s_subb_u32 s24, s25, s27
	s_cmp_ge_u32 s24, s21
	v_readfirstlane_b32 s27, v1
	s_cselect_b32 s25, -1, 0
	s_cmp_ge_u32 s27, s20
	s_cselect_b32 s20, -1, 0
	s_cmp_eq_u32 s24, s21
	s_cselect_b32 s20, s20, s25
	s_cmp_lg_u32 s20, 0
	s_cselect_b32 s5, s5, s26
	s_cselect_b32 s4, s4, s3
	s_xor_b64 s[10:11], s[22:23], s[10:11]
	s_xor_b64 s[4:5], s[4:5], s[10:11]
	s_sub_u32 s4, s4, s10
	s_subb_u32 s5, s5, s11
	s_cbranch_execnz .LBB10_4
.LBB10_3:
	v_cvt_f32_u32_e32 v1, s30
	s_sub_i32 s3, 0, s30
	s_mov_b32 s5, 0
	v_rcp_iflag_f32_e32 v1, v1
	s_nop 0
	v_mul_f32_e32 v1, 0x4f7ffffe, v1
	v_cvt_u32_f32_e32 v1, v1
	s_nop 0
	v_readfirstlane_b32 s4, v1
	s_mul_i32 s3, s3, s4
	s_mul_hi_u32 s3, s4, s3
	s_add_i32 s4, s4, s3
	s_mul_hi_u32 s3, s6, s4
	s_mul_i32 s8, s3, s30
	s_sub_i32 s8, s6, s8
	s_add_i32 s4, s3, 1
	s_sub_i32 s9, s8, s30
	s_cmp_ge_u32 s8, s30
	s_cselect_b32 s3, s4, s3
	s_cselect_b32 s8, s9, s8
	s_add_i32 s4, s3, 1
	s_cmp_ge_u32 s8, s30
	s_cselect_b32 s4, s4, s3
.LBB10_4:
	s_mul_i32 s3, s4, s31
	s_mul_hi_u32 s10, s4, s30
	s_add_i32 s3, s10, s3
	s_mul_i32 s10, s5, s30
	s_load_dwordx8 s[20:27], s[0:1], 0x28
	s_load_dwordx2 s[8:9], s[0:1], 0x48
	s_load_dwordx4 s[36:39], s[0:1], 0x60
	s_load_dword s65, s[0:1], 0x70
	s_add_i32 s3, s3, s10
	s_mul_i32 s10, s4, s30
	s_sub_u32 s40, s6, s10
	s_subb_u32 s41, s7, s3
	s_waitcnt lgkmcnt(0)
	s_mul_i32 s3, s2, s27
	s_mul_hi_u32 s6, s2, s26
	s_add_i32 s7, s6, s3
	s_mul_i32 s6, s2, s26
	s_lshl_b64 s[30:31], s[6:7], 2
	s_add_u32 s34, s12, s30
	s_mul_i32 s3, s2, s9
	s_mul_hi_u32 s6, s2, s8
	s_addc_u32 s35, s13, s31
	s_add_i32 s3, s6, s3
	s_mul_i32 s2, s2, s8
	s_lshl_b64 s[10:11], s[2:3], 2
	s_add_u32 s26, s14, s10
	s_mul_i32 s2, s4, s21
	s_mul_hi_u32 s3, s4, s20
	s_addc_u32 s27, s15, s11
	s_add_i32 s2, s3, s2
	s_mul_i32 s3, s5, s20
	s_add_i32 s33, s2, s3
	s_mul_i32 s62, s4, s20
	s_add_u32 s2, s16, s62
	s_mul_i32 s4, s40, s23
	s_mul_hi_u32 s5, s40, s22
	s_addc_u32 s3, s17, s33
	s_add_i32 s4, s5, s4
	s_mul_i32 s41, s41, s22
	s_add_i32 s63, s4, s41
	s_mul_i32 s64, s40, s22
	s_add_u32 s22, s2, s64
	s_addc_u32 s23, s3, s63
	s_add_u32 s2, s18, s62
	s_addc_u32 s3, s19, s33
	s_add_u32 s20, s2, s64
	s_addc_u32 s21, s3, s63
	s_ashr_i32 s3, s29, 31
	s_mov_b32 s2, s29
	s_cmp_lg_u64 s[2:3], s[24:25]
	s_cselect_b64 s[2:3], -1, 0
	s_cmp_lg_u32 s65, 0
	s_cselect_b64 s[4:5], -1, 0
	s_or_b64 s[4:5], s[2:3], s[4:5]
	s_mov_b64 s[2:3], -1
	s_and_b64 vcc, exec, s[4:5]
	s_cbranch_vccz .LBB10_39
; %bb.5:
	v_lshrrev_b32_e32 v1, 5, v0
	v_cmp_gt_i32_e32 vcc, s28, v1
	s_and_saveexec_b64 s[40:41], vcc
	s_cbranch_execz .LBB10_38
; %bb.6:
	s_load_dword s2, s[0:1], 0x84
	s_and_b32 s3, s29, 3
	v_and_b32_e32 v6, 31, v0
	v_mov_b32_e32 v9, 0
	v_lshlrev_b32_e32 v8, 2, v6
	s_waitcnt lgkmcnt(0)
	s_bfe_u32 s66, s2, 0xb0005
	s_cmp_eq_u32 s3, 0
	s_cselect_b64 s[4:5], -1, 0
	s_ashr_i32 s67, s29, 2
	s_add_u32 s6, s64, s62
	s_addc_u32 s7, s63, s33
	v_mov_b64_e32 v[2:3], s[6:7]
	v_mad_u64_u32 v[2:3], s[6:7], s24, v1, v[2:3]
	v_mov_b32_e32 v4, v3
	v_mad_u64_u32 v[4:5], s[6:7], s25, v1, v[4:5]
	s_mul_i32 s6, s25, s66
	s_mul_hi_u32 s7, s24, s66
	s_add_i32 s43, s7, s6
	s_add_u32 s44, s12, s30
	s_addc_u32 s45, s13, s31
	v_mov_b32_e32 v3, v4
	s_add_u32 s46, s14, s10
	v_lshl_add_u64 v[4:5], v[2:3], 0, v[8:9]
	v_lshlrev_b32_e32 v8, 4, v6
	s_addc_u32 s47, s15, s11
	v_lshl_add_u64 v[12:13], s[44:45], 0, v[8:9]
	v_lshl_add_u64 v[22:23], s[46:47], 0, v[8:9]
	v_cmp_gt_i32_e64 s[2:3], s67, v6
	v_mov_b32_e32 v7, v9
	v_lshl_add_u64 v[10:11], s[16:17], 0, v[4:5]
	s_mul_i32 s42, s24, s66
	v_mul_lo_u32 v14, s29, v1
	s_mul_i32 s68, s29, s66
	v_lshl_add_u64 v[16:17], s[16:17], 0, v[2:3]
	v_lshl_add_u64 v[18:19], v[12:13], 0, 8
	;; [unrolled: 1-line block ×5, first 2 shown]
	s_mov_b64 s[48:49], 0
	s_xor_b64 s[50:51], s[4:5], -1
	s_mov_b32 s69, 0x7f800000
	s_mov_b32 s70, 0x43700000
	;; [unrolled: 1-line block ×3, first 2 shown]
	s_mov_b64 s[52:53], 0x80
	s_mov_b64 s[54:55], 0x200
	v_mov_b32_e32 v38, 0xc3700000
	s_branch .LBB10_9
.LBB10_7:                               ;   in Loop: Header=BB10_9 Depth=1
	s_or_b64 exec, exec, s[58:59]
.LBB10_8:                               ;   in Loop: Header=BB10_9 Depth=1
	s_or_b64 exec, exec, s[56:57]
	v_add_u32_e32 v1, s66, v1
	v_cmp_le_i32_e32 vcc, s28, v1
	v_lshl_add_u64 v[10:11], v[10:11], 0, s[42:43]
	v_add_u32_e32 v14, s68, v14
	v_lshl_add_u64 v[16:17], v[16:17], 0, s[42:43]
	v_lshl_add_u64 v[20:21], v[20:21], 0, s[42:43]
	s_or_b64 s[48:49], vcc, s[48:49]
	v_lshl_add_u64 v[24:25], v[24:25], 0, s[42:43]
	s_andn2_b64 exec, exec, s[48:49]
	s_cbranch_execz .LBB10_38
.LBB10_9:                               ; =>This Loop Header: Depth=1
                                        ;     Child Loop BB10_14 Depth 2
                                        ;     Child Loop BB10_17 Depth 2
	;; [unrolled: 1-line block ×6, first 2 shown]
	v_mul_lo_u32 v2, v1, s65
	v_ashrrev_i32_e32 v3, 31, v2
	v_lshlrev_b64 v[2:3], 2, v[2:3]
	v_lshl_add_u64 v[4:5], s[36:37], 0, v[2:3]
	v_lshl_add_u64 v[2:3], s[38:39], 0, v[2:3]
	global_load_dword v40, v[4:5], off
	global_load_dword v39, v[2:3], off
	v_mul_lo_u32 v32, v1, s29
	v_ashrrev_i32_e32 v33, 31, v32
	v_lshl_add_u64 v[4:5], v[32:33], 2, s[34:35]
	v_mad_u64_u32 v[30:31], s[4:5], v1, s24, 0
	v_mov_b32_e32 v2, v31
	v_and_b32_e32 v8, 15, v4
	v_ashrrev_i32_e32 v15, 31, v14
	v_mad_u64_u32 v[2:3], s[4:5], v1, s25, v[2:3]
	v_cmp_ne_u64_e32 vcc, 0, v[8:9]
	v_lshlrev_b64 v[28:29], 2, v[14:15]
	v_mov_b32_e32 v31, v2
	s_or_b64 s[4:5], s[50:51], vcc
	s_and_saveexec_b64 s[6:7], s[4:5]
	s_xor_b64 s[4:5], exec, s[6:7]
	s_cbranch_execz .LBB10_19
; %bb.10:                               ;   in Loop: Header=BB10_9 Depth=1
	v_sub_u32_e32 v2, 0, v4
	v_bfe_u32 v2, v2, 2, 2
	v_min_i32_e32 v2, s29, v2
	v_cmp_gt_i32_e32 vcc, v2, v6
	s_and_saveexec_b64 s[6:7], vcc
	s_cbranch_execz .LBB10_12
; %bb.11:                               ;   in Loop: Header=BB10_9 Depth=1
	v_lshlrev_b32_e32 v8, 2, v6
	v_lshl_add_u64 v[4:5], v[4:5], 0, v[8:9]
	global_load_dword v3, v[4:5], off
	s_waitcnt vmcnt(0)
	v_div_scale_f32 v4, s[8:9], v40, v40, v3
	v_rcp_f32_e32 v5, v4
	v_div_scale_f32 v8, vcc, v3, v40, v3
	v_fma_f32 v15, -v4, v5, 1.0
	v_fmac_f32_e32 v5, v15, v5
	v_mul_f32_e32 v15, v8, v5
	v_fma_f32 v34, -v4, v15, v8
	v_fmac_f32_e32 v15, v34, v5
	v_fma_f32 v4, -v4, v15, v8
	v_div_fmas_f32 v4, v4, v5, v15
	v_div_fixup_f32 v3, v4, v40, v3
	v_med3_f32 v4, v3, s70, v38
	v_cmp_nlg_f32_e64 vcc, |v3|, s69
	v_mov_b32_e32 v8, v9
	s_nop 0
	v_cndmask_b32_e32 v3, v4, v3, vcc
	v_cvt_pk_fp8_f32 v8, v3, v3
	v_lshl_add_u64 v[4:5], s[22:23], 0, v[30:31]
	v_lshl_add_u64 v[4:5], v[4:5], 0, v[6:7]
	global_store_byte v[4:5], v8, off
.LBB10_12:                              ;   in Loop: Header=BB10_9 Depth=1
	s_or_b64 exec, exec, s[6:7]
	v_sub_u32_e32 v8, s29, v2
	v_ashrrev_i32_e32 v4, 31, v8
	v_lshrrev_b32_e32 v4, 30, v4
	v_add_u32_e32 v4, v8, v4
	v_ashrrev_i32_e32 v3, 31, v2
	v_ashrrev_i32_e32 v15, 2, v4
	v_cmp_gt_i32_e32 vcc, v15, v6
	v_lshl_add_u64 v[4:5], v[2:3], 2, v[28:29]
	s_and_saveexec_b64 s[6:7], vcc
	s_cbranch_execz .LBB10_15
; %bb.13:                               ;   in Loop: Header=BB10_9 Depth=1
	v_lshl_add_u64 v[34:35], v[10:11], 0, v[2:3]
	v_lshl_add_u64 v[36:37], v[12:13], 0, v[4:5]
	s_mov_b64 s[8:9], 0
	v_mov_b32_e32 v41, v6
.LBB10_14:                              ;   Parent Loop BB10_9 Depth=1
                                        ; =>  This Inner Loop Header: Depth=2
	global_load_dwordx4 v[42:45], v[36:37], off
	v_add_u32_e32 v41, 32, v41
	v_lshl_add_u64 v[36:37], v[36:37], 0, s[54:55]
	s_waitcnt vmcnt(0)
	v_div_scale_f32 v46, s[56:57], v40, v40, v42
	v_rcp_f32_e32 v47, v46
	s_nop 0
	v_fma_f32 v48, -v46, v47, 1.0
	v_fmac_f32_e32 v47, v48, v47
	v_div_scale_f32 v48, vcc, v42, v40, v42
	v_mul_f32_e32 v49, v48, v47
	v_fma_f32 v50, -v46, v49, v48
	v_fmac_f32_e32 v49, v50, v47
	v_fma_f32 v46, -v46, v49, v48
	v_div_fmas_f32 v46, v46, v47, v49
	v_div_fixup_f32 v42, v46, v40, v42
	v_cmp_nlg_f32_e64 vcc, |v42|, s69
	v_med3_f32 v46, v42, s70, v38
	s_nop 0
	v_cndmask_b32_e32 v42, v46, v42, vcc
	v_mov_b32_e32 v46, 0
	v_cvt_pk_fp8_f32 v46, v42, v42
	v_div_scale_f32 v42, s[56:57], v40, v40, v43
	v_rcp_f32_e32 v47, v42
	s_nop 0
	v_fma_f32 v48, -v42, v47, 1.0
	v_fmac_f32_e32 v47, v48, v47
	v_div_scale_f32 v48, vcc, v43, v40, v43
	v_mul_f32_e32 v49, v48, v47
	v_fma_f32 v50, -v42, v49, v48
	v_fmac_f32_e32 v49, v50, v47
	v_fma_f32 v42, -v42, v49, v48
	v_div_fmas_f32 v42, v42, v47, v49
	v_div_fixup_f32 v42, v42, v40, v43
	v_cmp_nlg_f32_e64 vcc, |v42|, s69
	v_med3_f32 v43, v42, s70, v38
	s_nop 0
	v_cndmask_b32_e32 v42, v43, v42, vcc
	v_mov_b32_e32 v43, 0
	v_cvt_pk_fp8_f32 v43, v42, v42
	v_div_scale_f32 v42, s[56:57], v40, v40, v44
	v_rcp_f32_e32 v47, v42
	v_lshlrev_b32_e32 v43, 8, v43
	v_and_b32_e32 v43, 0xff00, v43
	v_fma_f32 v48, -v42, v47, 1.0
	v_fmac_f32_e32 v47, v48, v47
	v_div_scale_f32 v48, vcc, v44, v40, v44
	v_mul_f32_e32 v49, v48, v47
	v_fma_f32 v50, -v42, v49, v48
	v_fmac_f32_e32 v49, v50, v47
	v_fma_f32 v42, -v42, v49, v48
	v_div_fmas_f32 v42, v42, v47, v49
	v_div_fixup_f32 v42, v42, v40, v44
	v_cmp_nlg_f32_e64 vcc, |v42|, s69
	v_med3_f32 v44, v42, s70, v38
	s_nop 0
	v_cndmask_b32_e32 v42, v44, v42, vcc
	v_mov_b32_e32 v44, 0
	v_cvt_pk_fp8_f32 v44, v42, v42
	v_div_scale_f32 v42, s[56:57], v40, v40, v45
	v_rcp_f32_e32 v47, v42
	s_nop 0
	v_fma_f32 v48, -v42, v47, 1.0
	v_fmac_f32_e32 v47, v48, v47
	v_div_scale_f32 v48, vcc, v45, v40, v45
	v_mul_f32_e32 v49, v48, v47
	v_fma_f32 v50, -v42, v49, v48
	v_fmac_f32_e32 v49, v50, v47
	v_fma_f32 v42, -v42, v49, v48
	v_div_fmas_f32 v42, v42, v47, v49
	v_div_fixup_f32 v42, v42, v40, v45
	v_cmp_nlg_f32_e64 vcc, |v42|, s69
	v_med3_f32 v45, v42, s70, v38
	s_nop 0
	v_cndmask_b32_e32 v42, v45, v42, vcc
	v_mov_b32_e32 v45, 0
	v_cvt_pk_fp8_f32 v45, v42, v42
	v_lshlrev_b32_e32 v42, 16, v44
	v_and_b32_e32 v44, 0xff, v46
	v_cmp_ge_i32_e32 vcc, v41, v15
	v_perm_b32 v42, v45, v42, s71
	v_or3_b32 v42, v42, v43, v44
	global_store_dword v[34:35], v42, off
	v_lshl_add_u64 v[34:35], v[34:35], 0, s[52:53]
	s_or_b64 s[8:9], vcc, s[8:9]
	s_andn2_b64 exec, exec, s[8:9]
	s_cbranch_execnz .LBB10_14
.LBB10_15:                              ;   in Loop: Header=BB10_9 Depth=1
	s_or_b64 exec, exec, s[6:7]
	v_lshl_add_u32 v34, v15, 2, v6
	v_cmp_lt_i32_e32 vcc, v34, v8
	s_and_saveexec_b64 s[6:7], vcc
	s_cbranch_execz .LBB10_18
; %bb.16:                               ;   in Loop: Header=BB10_9 Depth=1
	v_ashrrev_i32_e32 v35, 31, v34
	v_lshl_add_u64 v[4:5], v[34:35], 2, v[4:5]
	v_lshl_add_u64 v[2:3], v[2:3], 0, v[34:35]
	;; [unrolled: 1-line block ×4, first 2 shown]
	s_mov_b64 s[8:9], 0
.LBB10_17:                              ;   Parent Loop BB10_9 Depth=1
                                        ; =>  This Inner Loop Header: Depth=2
	global_load_dword v15, v[4:5], off
	v_mov_b32_e32 v35, 0
	v_add_u32_e32 v34, 32, v34
	v_lshl_add_u64 v[4:5], v[4:5], 0, s[52:53]
	s_waitcnt vmcnt(0)
	v_div_scale_f32 v36, s[56:57], v40, v40, v15
	v_rcp_f32_e32 v41, v36
	v_div_scale_f32 v37, vcc, v15, v40, v15
	v_fma_f32 v42, -v36, v41, 1.0
	v_fmac_f32_e32 v41, v42, v41
	v_mul_f32_e32 v42, v37, v41
	v_fma_f32 v43, -v36, v42, v37
	v_fmac_f32_e32 v42, v43, v41
	v_fma_f32 v36, -v36, v42, v37
	v_div_fmas_f32 v36, v36, v41, v42
	v_div_fixup_f32 v15, v36, v40, v15
	v_med3_f32 v36, v15, s70, v38
	v_cmp_nlg_f32_e64 vcc, |v15|, s69
	s_nop 1
	v_cndmask_b32_e32 v15, v36, v15, vcc
	v_cvt_pk_fp8_f32 v35, v15, v15
	v_cmp_ge_i32_e32 vcc, v34, v8
	s_or_b64 s[8:9], vcc, s[8:9]
	global_store_byte v[2:3], v35, off
	v_lshl_add_u64 v[2:3], v[2:3], 0, 32
	s_andn2_b64 exec, exec, s[8:9]
	s_cbranch_execnz .LBB10_17
.LBB10_18:                              ;   in Loop: Header=BB10_9 Depth=1
	s_or_b64 exec, exec, s[6:7]
                                        ; implicit-def: $vgpr40
.LBB10_19:                              ;   in Loop: Header=BB10_9 Depth=1
	s_andn2_saveexec_b64 s[56:57], s[4:5]
	s_cbranch_execz .LBB10_24
; %bb.20:                               ;   in Loop: Header=BB10_9 Depth=1
	s_and_saveexec_b64 s[58:59], s[2:3]
	s_cbranch_execz .LBB10_23
; %bb.21:                               ;   in Loop: Header=BB10_9 Depth=1
	v_lshl_add_u64 v[34:35], v[18:19], 0, v[28:29]
	s_mov_b64 s[60:61], 0
	v_mov_b64_e32 v[36:37], v[10:11]
	v_mov_b32_e32 v8, v6
.LBB10_22:                              ;   Parent Loop BB10_9 Depth=1
                                        ; =>  This Inner Loop Header: Depth=2
	global_load_dwordx4 v[2:5], v[34:35], off offset:-8
	v_add_u32_e32 v8, 32, v8
	v_cmp_le_i32_e32 vcc, s67, v8
	s_or_b64 s[60:61], vcc, s[60:61]
	v_mov_b32_e32 v15, 0
	v_mov_b32_e32 v41, 0
	;; [unrolled: 1-line block ×4, first 2 shown]
	v_lshl_add_u64 v[34:35], v[34:35], 0, s[54:55]
	s_waitcnt vmcnt(0)
	v_div_scale_f32 v44, s[4:5], v40, v40, v2
	v_div_scale_f32 v46, s[4:5], v40, v40, v3
	v_rcp_f32_e32 v52, v44
	v_div_scale_f32 v48, s[6:7], v40, v40, v4
	v_rcp_f32_e32 v53, v46
	v_rcp_f32_e32 v54, v48
	v_div_scale_f32 v50, s[8:9], v40, v40, v5
	v_rcp_f32_e32 v55, v50
	v_fma_f32 v56, -v44, v52, 1.0
	v_div_scale_f32 v45, vcc, v2, v40, v2
	v_fma_f32 v57, -v46, v53, 1.0
	v_fmac_f32_e32 v52, v56, v52
	v_div_scale_f32 v47, s[4:5], v3, v40, v3
	v_fma_f32 v58, -v48, v54, 1.0
	v_fmac_f32_e32 v53, v57, v53
	v_mul_f32_e32 v56, v45, v52
	v_div_scale_f32 v49, s[6:7], v4, v40, v4
	v_fmac_f32_e32 v54, v58, v54
	v_mul_f32_e32 v57, v47, v53
	v_fma_f32 v60, -v44, v56, v45
	v_fma_f32 v59, -v50, v55, 1.0
	v_mul_f32_e32 v58, v49, v54
	v_fma_f32 v61, -v46, v57, v47
	v_fmac_f32_e32 v56, v60, v52
	v_div_scale_f32 v51, s[8:9], v5, v40, v5
	v_fmac_f32_e32 v55, v59, v55
	v_fma_f32 v62, -v48, v58, v49
	v_fmac_f32_e32 v57, v61, v53
	v_fma_f32 v44, -v44, v56, v45
	v_mul_f32_e32 v59, v51, v55
	v_fmac_f32_e32 v58, v62, v54
	v_fma_f32 v45, -v46, v57, v47
	v_div_fmas_f32 v44, v44, v52, v56
	s_mov_b64 vcc, s[4:5]
	v_fma_f32 v63, -v50, v59, v51
	v_fma_f32 v46, -v48, v58, v49
	v_div_fixup_f32 v2, v44, v40, v2
	v_div_fmas_f32 v44, v45, v53, v57
	s_mov_b64 vcc, s[6:7]
	v_fmac_f32_e32 v59, v63, v55
	v_med3_f32 v45, v2, s70, v38
	v_div_fixup_f32 v3, v44, v40, v3
	v_div_fmas_f32 v44, v46, v54, v58
	v_cmp_nlg_f32_e64 vcc, |v2|, s69
	v_fma_f32 v47, -v50, v59, v51
	v_div_fixup_f32 v4, v44, v40, v4
	v_cndmask_b32_e32 v2, v45, v2, vcc
	s_mov_b64 vcc, s[8:9]
	v_med3_f32 v45, v3, s70, v38
	v_div_fmas_f32 v44, v47, v55, v59
	v_cmp_nlg_f32_e64 vcc, |v3|, s69
	v_cvt_pk_fp8_f32 v15, v2, v2
	v_div_fixup_f32 v5, v44, v40, v5
	v_cndmask_b32_e32 v2, v45, v3, vcc
	v_med3_f32 v3, v4, s70, v38
	v_cmp_nlg_f32_e64 vcc, |v4|, s69
	v_cvt_pk_fp8_f32 v41, v2, v2
	s_nop 0
	v_cndmask_b32_e32 v2, v3, v4, vcc
	v_med3_f32 v3, v5, s70, v38
	v_cmp_nlg_f32_e64 vcc, |v5|, s69
	v_cvt_pk_fp8_f32 v42, v2, v2
	v_lshlrev_b32_e32 v4, 16, v42
	v_cndmask_b32_e32 v2, v3, v5, vcc
	v_cvt_pk_fp8_f32 v43, v2, v2
	v_lshlrev_b32_e32 v3, 8, v41
	v_and_b32_e32 v2, 0xff, v15
	v_and_b32_e32 v3, 0xff00, v3
	v_perm_b32 v4, v43, v4, s71
	v_or3_b32 v2, v4, v3, v2
	global_store_dword v[36:37], v2, off
	v_lshl_add_u64 v[36:37], v[36:37], 0, s[52:53]
	s_andn2_b64 exec, exec, s[60:61]
	s_cbranch_execnz .LBB10_22
.LBB10_23:                              ;   in Loop: Header=BB10_9 Depth=1
	s_or_b64 exec, exec, s[58:59]
.LBB10_24:                              ;   in Loop: Header=BB10_9 Depth=1
	s_or_b64 exec, exec, s[56:57]
	v_lshl_add_u64 v[2:3], v[32:33], 2, s[26:27]
	v_and_b32_e32 v8, 15, v2
	v_cmp_ne_u64_e32 vcc, 0, v[8:9]
	s_or_b64 s[4:5], s[50:51], vcc
	s_and_saveexec_b64 s[6:7], s[4:5]
	s_xor_b64 s[56:57], exec, s[6:7]
	s_cbranch_execz .LBB10_34
; %bb.25:                               ;   in Loop: Header=BB10_9 Depth=1
	v_sub_u32_e32 v4, 0, v2
	v_bfe_u32 v4, v4, 2, 2
	v_min_i32_e32 v32, s29, v4
	v_cmp_gt_i32_e32 vcc, v32, v6
	s_and_saveexec_b64 s[4:5], vcc
	s_cbranch_execz .LBB10_27
; %bb.26:                               ;   in Loop: Header=BB10_9 Depth=1
	v_lshlrev_b32_e32 v8, 2, v6
	v_lshl_add_u64 v[2:3], v[2:3], 0, v[8:9]
	global_load_dword v2, v[2:3], off
	s_waitcnt vmcnt(0)
	v_div_scale_f32 v3, s[6:7], v39, v39, v2
	v_rcp_f32_e32 v4, v3
	v_div_scale_f32 v5, vcc, v2, v39, v2
	v_fma_f32 v8, -v3, v4, 1.0
	v_fmac_f32_e32 v4, v8, v4
	v_mul_f32_e32 v8, v5, v4
	v_fma_f32 v15, -v3, v8, v5
	v_fmac_f32_e32 v8, v15, v4
	v_fma_f32 v3, -v3, v8, v5
	v_div_fmas_f32 v3, v3, v4, v8
	v_div_fixup_f32 v2, v3, v39, v2
	v_med3_f32 v3, v2, s70, v38
	v_cmp_nlg_f32_e64 vcc, |v2|, s69
	v_mov_b32_e32 v4, v9
	s_nop 0
	v_cndmask_b32_e32 v2, v3, v2, vcc
	v_cvt_pk_fp8_f32 v4, v2, v2
	v_lshl_add_u64 v[2:3], s[20:21], 0, v[30:31]
	v_lshl_add_u64 v[2:3], v[2:3], 0, v[6:7]
	global_store_byte v[2:3], v4, off
.LBB10_27:                              ;   in Loop: Header=BB10_9 Depth=1
	s_or_b64 exec, exec, s[4:5]
	v_sub_u32_e32 v8, s29, v32
	v_ashrrev_i32_e32 v2, 31, v8
	v_lshrrev_b32_e32 v2, 30, v2
	v_add_u32_e32 v2, v8, v2
	v_ashrrev_i32_e32 v33, 31, v32
	v_ashrrev_i32_e32 v15, 2, v2
	v_cmp_gt_i32_e32 vcc, v15, v6
	v_lshl_add_u64 v[28:29], v[32:33], 2, v[28:29]
	s_and_saveexec_b64 s[58:59], vcc
	s_cbranch_execz .LBB10_30
; %bb.28:                               ;   in Loop: Header=BB10_9 Depth=1
	v_lshl_add_u64 v[30:31], v[20:21], 0, v[32:33]
	v_lshl_add_u64 v[34:35], v[22:23], 0, v[28:29]
	s_mov_b64 s[60:61], 0
	v_mov_b32_e32 v36, v6
.LBB10_29:                              ;   Parent Loop BB10_9 Depth=1
                                        ; =>  This Inner Loop Header: Depth=2
	global_load_dwordx4 v[2:5], v[34:35], off
	v_add_u32_e32 v36, 32, v36
	v_cmp_ge_i32_e32 vcc, v36, v15
	s_or_b64 s[60:61], vcc, s[60:61]
	v_mov_b32_e32 v37, 0
	s_waitcnt vmcnt(2)
	v_mov_b32_e32 v40, 0
	v_mov_b32_e32 v41, 0
	v_mov_b32_e32 v42, 0
	v_lshl_add_u64 v[34:35], v[34:35], 0, s[54:55]
	s_waitcnt vmcnt(0)
	v_div_scale_f32 v43, s[4:5], v39, v39, v2
	v_div_scale_f32 v45, s[4:5], v39, v39, v3
	v_rcp_f32_e32 v51, v43
	v_div_scale_f32 v47, s[6:7], v39, v39, v4
	v_rcp_f32_e32 v52, v45
	v_rcp_f32_e32 v53, v47
	v_div_scale_f32 v49, s[8:9], v39, v39, v5
	v_rcp_f32_e32 v54, v49
	v_fma_f32 v55, -v43, v51, 1.0
	v_div_scale_f32 v44, vcc, v2, v39, v2
	v_fma_f32 v56, -v45, v52, 1.0
	v_fmac_f32_e32 v51, v55, v51
	v_div_scale_f32 v46, s[4:5], v3, v39, v3
	v_fma_f32 v57, -v47, v53, 1.0
	v_fmac_f32_e32 v52, v56, v52
	v_mul_f32_e32 v55, v44, v51
	v_div_scale_f32 v48, s[6:7], v4, v39, v4
	v_fmac_f32_e32 v53, v57, v53
	v_mul_f32_e32 v56, v46, v52
	v_fma_f32 v59, -v43, v55, v44
	v_fma_f32 v58, -v49, v54, 1.0
	v_mul_f32_e32 v57, v48, v53
	v_fma_f32 v60, -v45, v56, v46
	v_fmac_f32_e32 v55, v59, v51
	v_div_scale_f32 v50, s[8:9], v5, v39, v5
	v_fmac_f32_e32 v54, v58, v54
	v_fma_f32 v61, -v47, v57, v48
	v_fmac_f32_e32 v56, v60, v52
	v_fma_f32 v43, -v43, v55, v44
	v_mul_f32_e32 v58, v50, v54
	v_fmac_f32_e32 v57, v61, v53
	v_fma_f32 v44, -v45, v56, v46
	v_div_fmas_f32 v43, v43, v51, v55
	s_mov_b64 vcc, s[4:5]
	v_fma_f32 v62, -v49, v58, v50
	v_fma_f32 v45, -v47, v57, v48
	v_div_fixup_f32 v2, v43, v39, v2
	v_div_fmas_f32 v43, v44, v52, v56
	s_mov_b64 vcc, s[6:7]
	v_fmac_f32_e32 v58, v62, v54
	v_med3_f32 v44, v2, s70, v38
	v_div_fixup_f32 v3, v43, v39, v3
	v_div_fmas_f32 v43, v45, v53, v57
	v_cmp_nlg_f32_e64 vcc, |v2|, s69
	v_fma_f32 v46, -v49, v58, v50
	v_div_fixup_f32 v4, v43, v39, v4
	v_cndmask_b32_e32 v2, v44, v2, vcc
	s_mov_b64 vcc, s[8:9]
	v_med3_f32 v44, v3, s70, v38
	v_div_fmas_f32 v43, v46, v54, v58
	v_cmp_nlg_f32_e64 vcc, |v3|, s69
	v_cvt_pk_fp8_f32 v37, v2, v2
	v_div_fixup_f32 v5, v43, v39, v5
	v_cndmask_b32_e32 v2, v44, v3, vcc
	v_med3_f32 v3, v4, s70, v38
	v_cmp_nlg_f32_e64 vcc, |v4|, s69
	v_cvt_pk_fp8_f32 v40, v2, v2
	s_nop 0
	v_cndmask_b32_e32 v2, v3, v4, vcc
	v_med3_f32 v3, v5, s70, v38
	v_cmp_nlg_f32_e64 vcc, |v5|, s69
	v_cvt_pk_fp8_f32 v41, v2, v2
	v_lshlrev_b32_e32 v4, 16, v41
	v_cndmask_b32_e32 v2, v3, v5, vcc
	v_cvt_pk_fp8_f32 v42, v2, v2
	v_lshlrev_b32_e32 v3, 8, v40
	v_and_b32_e32 v2, 0xff, v37
	v_and_b32_e32 v3, 0xff00, v3
	v_perm_b32 v4, v42, v4, s71
	v_or3_b32 v2, v4, v3, v2
	global_store_dword v[30:31], v2, off
	v_lshl_add_u64 v[30:31], v[30:31], 0, s[52:53]
	s_andn2_b64 exec, exec, s[60:61]
	s_cbranch_execnz .LBB10_29
.LBB10_30:                              ;   in Loop: Header=BB10_9 Depth=1
	s_or_b64 exec, exec, s[58:59]
	v_lshl_add_u32 v2, v15, 2, v6
	v_cmp_lt_i32_e32 vcc, v2, v8
	s_and_saveexec_b64 s[4:5], vcc
	s_cbranch_execz .LBB10_33
; %bb.31:                               ;   in Loop: Header=BB10_9 Depth=1
	v_ashrrev_i32_e32 v3, 31, v2
	v_lshl_add_u64 v[4:5], v[2:3], 2, v[28:29]
	v_lshl_add_u64 v[28:29], v[32:33], 0, v[2:3]
	;; [unrolled: 1-line block ×4, first 2 shown]
	s_mov_b64 s[6:7], 0
.LBB10_32:                              ;   Parent Loop BB10_9 Depth=1
                                        ; =>  This Inner Loop Header: Depth=2
	global_load_dword v3, v[4:5], off
	v_mov_b32_e32 v15, 0
	v_add_u32_e32 v2, 32, v2
	v_lshl_add_u64 v[4:5], v[4:5], 0, s[52:53]
	s_waitcnt vmcnt(0)
	v_div_scale_f32 v30, s[8:9], v39, v39, v3
	v_rcp_f32_e32 v32, v30
	v_div_scale_f32 v31, vcc, v3, v39, v3
	v_fma_f32 v33, -v30, v32, 1.0
	v_fmac_f32_e32 v32, v33, v32
	v_mul_f32_e32 v33, v31, v32
	v_fma_f32 v34, -v30, v33, v31
	v_fmac_f32_e32 v33, v34, v32
	v_fma_f32 v30, -v30, v33, v31
	v_div_fmas_f32 v30, v30, v32, v33
	v_div_fixup_f32 v3, v30, v39, v3
	v_med3_f32 v30, v3, s70, v38
	v_cmp_nlg_f32_e64 vcc, |v3|, s69
	s_nop 1
	v_cndmask_b32_e32 v3, v30, v3, vcc
	v_cvt_pk_fp8_f32 v15, v3, v3
	v_cmp_ge_i32_e32 vcc, v2, v8
	s_or_b64 s[6:7], vcc, s[6:7]
	global_store_byte v[28:29], v15, off
	v_lshl_add_u64 v[28:29], v[28:29], 0, 32
	s_andn2_b64 exec, exec, s[6:7]
	s_cbranch_execnz .LBB10_32
.LBB10_33:                              ;   in Loop: Header=BB10_9 Depth=1
	s_or_b64 exec, exec, s[4:5]
                                        ; implicit-def: $vgpr39
                                        ; implicit-def: $vgpr28_vgpr29
.LBB10_34:                              ;   in Loop: Header=BB10_9 Depth=1
	s_andn2_saveexec_b64 s[56:57], s[56:57]
	s_cbranch_execz .LBB10_8
; %bb.35:                               ;   in Loop: Header=BB10_9 Depth=1
	s_and_saveexec_b64 s[58:59], s[2:3]
	s_cbranch_execz .LBB10_7
; %bb.36:                               ;   in Loop: Header=BB10_9 Depth=1
	v_lshl_add_u64 v[28:29], v[26:27], 0, v[28:29]
	s_mov_b64 s[60:61], 0
	v_mov_b64_e32 v[30:31], v[20:21]
	v_mov_b32_e32 v8, v6
.LBB10_37:                              ;   Parent Loop BB10_9 Depth=1
                                        ; =>  This Inner Loop Header: Depth=2
	global_load_dwordx4 v[2:5], v[28:29], off offset:-8
	v_add_u32_e32 v8, 32, v8
	v_cmp_le_i32_e32 vcc, s67, v8
	s_or_b64 s[60:61], vcc, s[60:61]
	v_mov_b32_e32 v15, 0
	v_mov_b32_e32 v32, 0
	;; [unrolled: 1-line block ×4, first 2 shown]
	v_lshl_add_u64 v[28:29], v[28:29], 0, s[54:55]
	s_waitcnt vmcnt(0)
	v_div_scale_f32 v35, s[4:5], v39, v39, v2
	v_div_scale_f32 v37, s[4:5], v39, v39, v3
	v_rcp_f32_e32 v45, v35
	v_div_scale_f32 v41, s[6:7], v39, v39, v4
	v_rcp_f32_e32 v46, v37
	v_rcp_f32_e32 v47, v41
	v_div_scale_f32 v43, s[8:9], v39, v39, v5
	v_rcp_f32_e32 v48, v43
	v_fma_f32 v49, -v35, v45, 1.0
	v_div_scale_f32 v36, vcc, v2, v39, v2
	v_fma_f32 v50, -v37, v46, 1.0
	v_fmac_f32_e32 v45, v49, v45
	v_div_scale_f32 v40, s[4:5], v3, v39, v3
	v_fma_f32 v51, -v41, v47, 1.0
	v_fmac_f32_e32 v46, v50, v46
	v_mul_f32_e32 v49, v36, v45
	v_div_scale_f32 v42, s[6:7], v4, v39, v4
	v_fmac_f32_e32 v47, v51, v47
	v_mul_f32_e32 v50, v40, v46
	v_fma_f32 v53, -v35, v49, v36
	v_fma_f32 v52, -v43, v48, 1.0
	v_mul_f32_e32 v51, v42, v47
	v_fma_f32 v54, -v37, v50, v40
	v_fmac_f32_e32 v49, v53, v45
	v_div_scale_f32 v44, s[8:9], v5, v39, v5
	v_fmac_f32_e32 v48, v52, v48
	v_fma_f32 v55, -v41, v51, v42
	v_fmac_f32_e32 v50, v54, v46
	v_fma_f32 v35, -v35, v49, v36
	v_mul_f32_e32 v52, v44, v48
	v_fmac_f32_e32 v51, v55, v47
	v_fma_f32 v36, -v37, v50, v40
	v_div_fmas_f32 v35, v35, v45, v49
	s_mov_b64 vcc, s[4:5]
	v_fma_f32 v56, -v43, v52, v44
	v_fma_f32 v37, -v41, v51, v42
	v_div_fixup_f32 v2, v35, v39, v2
	v_div_fmas_f32 v35, v36, v46, v50
	s_mov_b64 vcc, s[6:7]
	v_fmac_f32_e32 v52, v56, v48
	v_med3_f32 v36, v2, s70, v38
	v_div_fixup_f32 v3, v35, v39, v3
	v_div_fmas_f32 v35, v37, v47, v51
	v_cmp_nlg_f32_e64 vcc, |v2|, s69
	v_fma_f32 v40, -v43, v52, v44
	v_div_fixup_f32 v4, v35, v39, v4
	v_cndmask_b32_e32 v2, v36, v2, vcc
	s_mov_b64 vcc, s[8:9]
	v_med3_f32 v36, v3, s70, v38
	v_div_fmas_f32 v35, v40, v48, v52
	v_cmp_nlg_f32_e64 vcc, |v3|, s69
	v_cvt_pk_fp8_f32 v15, v2, v2
	v_div_fixup_f32 v5, v35, v39, v5
	v_cndmask_b32_e32 v2, v36, v3, vcc
	v_med3_f32 v3, v4, s70, v38
	v_cmp_nlg_f32_e64 vcc, |v4|, s69
	v_cvt_pk_fp8_f32 v32, v2, v2
	s_nop 0
	v_cndmask_b32_e32 v2, v3, v4, vcc
	v_med3_f32 v3, v5, s70, v38
	v_cmp_nlg_f32_e64 vcc, |v5|, s69
	v_cvt_pk_fp8_f32 v33, v2, v2
	v_lshlrev_b32_e32 v4, 16, v33
	v_cndmask_b32_e32 v2, v3, v5, vcc
	v_cvt_pk_fp8_f32 v34, v2, v2
	v_lshlrev_b32_e32 v3, 8, v32
	v_and_b32_e32 v2, 0xff, v15
	v_and_b32_e32 v3, 0xff00, v3
	v_perm_b32 v4, v34, v4, s71
	v_or3_b32 v2, v4, v3, v2
	global_store_dword v[30:31], v2, off
	v_lshl_add_u64 v[30:31], v[30:31], 0, s[52:53]
	s_andn2_b64 exec, exec, s[60:61]
	s_cbranch_execnz .LBB10_37
	s_branch .LBB10_7
.LBB10_38:
	s_or_b64 exec, exec, s[40:41]
	s_mov_b64 s[2:3], 0
.LBB10_39:
	s_andn2_b64 vcc, exec, s[2:3]
	s_cbranch_vccnz .LBB10_71
; %bb.40:
	s_load_dword s1, s[0:1], 0x84
	s_and_b32 s0, s34, 15
	s_mul_i32 s40, s29, s28
	s_load_dword s41, s[36:37], 0x0
	s_load_dword s27, s[38:39], 0x0
	s_waitcnt lgkmcnt(0)
	s_and_b32 s6, s1, 0xffff
	s_mov_b32 s1, 0
	s_cmp_lg_u64 s[0:1], 0
	s_cselect_b64 s[0:1], -1, 0
	s_and_b32 s2, s40, 3
	s_cmp_eq_u32 s2, 0
	s_cselect_b64 s[8:9], -1, 0
	s_cmp_lg_u32 s2, 0
	s_cselect_b64 s[2:3], -1, 0
	s_or_b64 s[2:3], s[0:1], s[2:3]
	s_mov_b64 s[0:1], -1
	s_and_b64 vcc, exec, s[2:3]
	s_cbranch_vccz .LBB10_51
; %bb.41:
	s_sub_i32 s0, 0, s34
	s_bfe_u32 s0, s0, 0x20002
	s_min_i32 s24, s0, s40
	v_cmp_gt_i32_e32 vcc, s24, v0
	s_and_saveexec_b64 s[0:1], vcc
	s_cbranch_execz .LBB10_44
; %bb.42:
	v_mov_b32_e32 v1, 0
	s_add_u32 s2, s12, s30
	s_mov_b32 s7, 0
	v_lshlrev_b32_e32 v2, 2, v0
	v_mov_b32_e32 v3, v1
	s_addc_u32 s3, s13, s31
	v_lshl_add_u64 v[2:3], s[2:3], 0, v[2:3]
	s_lshl_b32 s2, s6, 2
	s_mov_b32 s3, s7
	s_mov_b64 s[4:5], 0
	s_mov_b32 s25, 0x7f800000
	s_mov_b32 s28, 0x43700000
	v_mov_b32_e32 v6, 0xc3700000
	v_mov_b64_e32 v[4:5], v[0:1]
.LBB10_43:                              ; =>This Inner Loop Header: Depth=1
	global_load_dword v1, v[2:3], off
	v_mov_b32_e32 v7, 0
	v_lshl_add_u64 v[8:9], s[22:23], 0, v[4:5]
	v_lshl_add_u64 v[4:5], v[4:5], 0, s[6:7]
	;; [unrolled: 1-line block ×3, first 2 shown]
	s_waitcnt vmcnt(0)
	v_div_scale_f32 v10, s[34:35], s41, s41, v1
	v_rcp_f32_e32 v11, v10
	v_div_scale_f32 v12, vcc, v1, s41, v1
	v_fma_f32 v13, -v10, v11, 1.0
	v_fmac_f32_e32 v11, v13, v11
	v_mul_f32_e32 v13, v12, v11
	v_fma_f32 v14, -v10, v13, v12
	v_fmac_f32_e32 v13, v14, v11
	v_fma_f32 v10, -v10, v13, v12
	v_div_fmas_f32 v10, v10, v11, v13
	v_div_fixup_f32 v1, v10, s41, v1
	v_med3_f32 v10, v1, s28, v6
	v_cmp_nlg_f32_e64 vcc, |v1|, s25
	s_nop 1
	v_cndmask_b32_e32 v1, v10, v1, vcc
	v_cvt_pk_fp8_f32 v7, v1, v1
	v_cmp_le_i32_e32 vcc, s24, v4
	s_or_b64 s[4:5], vcc, s[4:5]
	global_store_byte v[8:9], v7, off
	s_andn2_b64 exec, exec, s[4:5]
	s_cbranch_execnz .LBB10_43
.LBB10_44:
	s_or_b64 exec, exec, s[0:1]
	s_sub_i32 s7, s40, s24
	s_ashr_i32 s0, s7, 31
	s_lshr_b32 s0, s0, 30
	s_add_i32 s0, s7, s0
	s_ashr_i32 s38, s0, 2
	s_ashr_i32 s25, s24, 31
	v_cmp_gt_i32_e32 vcc, s38, v0
	s_and_saveexec_b64 s[22:23], vcc
	s_cbranch_execz .LBB10_47
; %bb.45:
	s_add_u32 s0, s24, s62
	s_addc_u32 s1, s25, s33
	s_add_u32 s0, s0, s64
	s_addc_u32 s1, s1, s63
	s_add_u32 s0, s16, s0
	v_lshlrev_b32_e32 v2, 2, v0
	v_mov_b32_e32 v3, 0
	s_addc_u32 s1, s17, s1
	v_lshl_add_u64 v[6:7], s[0:1], 0, v[2:3]
	s_lshl_b32 s28, s6, 2
	s_lshl_b64 s[0:1], s[24:25], 2
	s_add_u32 s0, s12, s0
	s_addc_u32 s1, s13, s1
	s_add_u32 s0, s0, s30
	v_lshlrev_b32_e32 v2, 4, v0
	s_addc_u32 s1, s1, s31
	s_mov_b32 s29, 0
	v_lshl_add_u64 v[2:3], s[0:1], 0, v[2:3]
	v_lshl_add_u64 v[8:9], v[2:3], 0, 8
	s_lshl_b32 s34, s6, 4
	s_mov_b32 s35, s29
	s_mov_b64 s[36:37], 0
	s_mov_b32 s39, 0x7f800000
	s_mov_b32 s42, 0x43700000
	v_mov_b32_e32 v1, 0xc3700000
	s_mov_b32 s43, 0x4020c0c
	v_mov_b32_e32 v10, v0
.LBB10_46:                              ; =>This Inner Loop Header: Depth=1
	global_load_dwordx4 v[2:5], v[8:9], off offset:-8
	v_add_u32_e32 v10, s6, v10
	v_cmp_le_i32_e32 vcc, s38, v10
	s_or_b64 s[36:37], vcc, s[36:37]
	v_mov_b32_e32 v11, 0
	v_mov_b32_e32 v12, 0
	v_mov_b32_e32 v13, 0
	v_mov_b32_e32 v14, 0
	v_lshl_add_u64 v[8:9], v[8:9], 0, s[34:35]
	s_waitcnt vmcnt(0)
	v_div_scale_f32 v15, s[0:1], s41, s41, v2
	v_div_scale_f32 v17, s[0:1], s41, s41, v3
	v_rcp_f32_e32 v23, v15
	v_div_scale_f32 v19, s[2:3], s41, s41, v4
	v_rcp_f32_e32 v24, v17
	v_rcp_f32_e32 v25, v19
	v_div_scale_f32 v21, s[4:5], s41, s41, v5
	v_rcp_f32_e32 v26, v21
	v_fma_f32 v27, -v15, v23, 1.0
	v_div_scale_f32 v16, vcc, v2, s41, v2
	v_fma_f32 v28, -v17, v24, 1.0
	v_fmac_f32_e32 v23, v27, v23
	v_div_scale_f32 v18, s[0:1], v3, s41, v3
	v_fma_f32 v29, -v19, v25, 1.0
	v_fmac_f32_e32 v24, v28, v24
	v_mul_f32_e32 v27, v16, v23
	v_div_scale_f32 v20, s[2:3], v4, s41, v4
	v_fmac_f32_e32 v25, v29, v25
	v_mul_f32_e32 v28, v18, v24
	v_fma_f32 v31, -v15, v27, v16
	v_fma_f32 v30, -v21, v26, 1.0
	v_mul_f32_e32 v29, v20, v25
	v_fma_f32 v32, -v17, v28, v18
	v_fmac_f32_e32 v27, v31, v23
	v_div_scale_f32 v22, s[4:5], v5, s41, v5
	v_fmac_f32_e32 v26, v30, v26
	v_fma_f32 v33, -v19, v29, v20
	v_fmac_f32_e32 v28, v32, v24
	v_fma_f32 v15, -v15, v27, v16
	v_mul_f32_e32 v30, v22, v26
	v_fmac_f32_e32 v29, v33, v25
	v_fma_f32 v16, -v17, v28, v18
	v_div_fmas_f32 v15, v15, v23, v27
	s_mov_b64 vcc, s[0:1]
	v_fma_f32 v34, -v21, v30, v22
	v_fma_f32 v17, -v19, v29, v20
	v_div_fixup_f32 v2, v15, s41, v2
	v_div_fmas_f32 v15, v16, v24, v28
	s_mov_b64 vcc, s[2:3]
	v_fmac_f32_e32 v30, v34, v26
	v_med3_f32 v16, v2, s42, v1
	v_div_fixup_f32 v3, v15, s41, v3
	v_div_fmas_f32 v15, v17, v25, v29
	v_cmp_nlg_f32_e64 vcc, |v2|, s39
	v_fma_f32 v18, -v21, v30, v22
	v_div_fixup_f32 v4, v15, s41, v4
	v_cndmask_b32_e32 v2, v16, v2, vcc
	s_mov_b64 vcc, s[4:5]
	v_med3_f32 v16, v3, s42, v1
	v_div_fmas_f32 v15, v18, v26, v30
	v_cmp_nlg_f32_e64 vcc, |v3|, s39
	v_cvt_pk_fp8_f32 v11, v2, v2
	v_div_fixup_f32 v5, v15, s41, v5
	v_cndmask_b32_e32 v2, v16, v3, vcc
	v_med3_f32 v3, v4, s42, v1
	v_cmp_nlg_f32_e64 vcc, |v4|, s39
	v_cvt_pk_fp8_f32 v12, v2, v2
	s_nop 0
	v_cndmask_b32_e32 v2, v3, v4, vcc
	v_med3_f32 v3, v5, s42, v1
	v_cmp_nlg_f32_e64 vcc, |v5|, s39
	v_cvt_pk_fp8_f32 v13, v2, v2
	v_lshlrev_b32_e32 v4, 16, v13
	v_cndmask_b32_e32 v2, v3, v5, vcc
	v_cvt_pk_fp8_f32 v14, v2, v2
	v_lshlrev_b32_e32 v3, 8, v12
	v_and_b32_e32 v2, 0xff, v11
	v_and_b32_e32 v3, 0xff00, v3
	v_perm_b32 v4, v14, v4, s43
	v_or3_b32 v2, v4, v3, v2
	global_store_dword v[6:7], v2, off
	v_lshl_add_u64 v[6:7], v[6:7], 0, s[28:29]
	s_andn2_b64 exec, exec, s[36:37]
	s_cbranch_execnz .LBB10_46
.LBB10_47:
	s_or_b64 exec, exec, s[22:23]
	v_lshl_add_u32 v2, s38, 2, v0
	v_cmp_gt_i32_e32 vcc, s7, v2
	s_and_saveexec_b64 s[0:1], vcc
	s_cbranch_execz .LBB10_50
; %bb.48:
	s_lshl_b64 s[4:5], s[24:25], 2
	s_add_u32 s2, s30, s4
	s_addc_u32 s5, s31, s5
	s_add_u32 s4, s12, s2
	v_ashrrev_i32_e32 v3, 31, v2
	s_addc_u32 s5, s13, s5
	s_lshl_b32 s2, s6, 2
	v_lshl_add_u64 v[4:5], v[2:3], 2, s[4:5]
	s_add_u32 s4, s24, s62
	s_addc_u32 s5, s25, s33
	s_add_u32 s4, s4, s64
	s_addc_u32 s5, s5, s63
	;; [unrolled: 2-line block ×3, first 2 shown]
	s_mov_b32 s3, 0
	v_lshl_add_u64 v[6:7], s[4:5], 0, v[2:3]
	s_mov_b64 s[4:5], 0
	s_mov_b32 s24, 0x7f800000
	s_mov_b32 s25, 0x43700000
	v_mov_b32_e32 v1, 0xc3700000
	s_mov_b64 s[22:23], 0
.LBB10_49:                              ; =>This Inner Loop Header: Depth=1
	global_load_dword v3, v[4:5], off
	v_mov_b32_e32 v10, 0
	v_lshl_add_u64 v[8:9], v[6:7], 0, s[22:23]
	s_add_u32 s22, s22, s6
	s_addc_u32 s23, s23, 0
	v_lshl_add_u64 v[4:5], v[4:5], 0, s[2:3]
	s_waitcnt vmcnt(0)
	v_div_scale_f32 v11, s[28:29], s41, s41, v3
	v_rcp_f32_e32 v12, v11
	v_div_scale_f32 v13, vcc, v3, s41, v3
	v_fma_f32 v14, -v11, v12, 1.0
	v_fmac_f32_e32 v12, v14, v12
	v_mul_f32_e32 v14, v13, v12
	v_fma_f32 v15, -v11, v14, v13
	v_fmac_f32_e32 v14, v15, v12
	v_fma_f32 v11, -v11, v14, v13
	v_div_fmas_f32 v11, v11, v12, v14
	v_div_fixup_f32 v3, v11, s41, v3
	v_med3_f32 v11, v3, s25, v1
	v_cmp_nlg_f32_e64 vcc, |v3|, s24
	s_nop 1
	v_cndmask_b32_e32 v3, v11, v3, vcc
	v_cvt_pk_fp8_f32 v10, v3, v3
	v_add_u32_e32 v3, s22, v2
	v_cmp_le_i32_e32 vcc, s7, v3
	s_or_b64 s[4:5], vcc, s[4:5]
	global_store_byte v[8:9], v10, off
	s_andn2_b64 exec, exec, s[4:5]
	s_cbranch_execnz .LBB10_49
.LBB10_50:
	s_or_b64 exec, exec, s[0:1]
	s_mov_b64 s[0:1], 0
.LBB10_51:
	s_and_b64 vcc, exec, s[0:1]
	s_cbranch_vccz .LBB10_56
; %bb.52:
	s_ashr_i32 s7, s40, 2
	v_cmp_gt_i32_e32 vcc, s7, v0
	s_and_saveexec_b64 s[22:23], vcc
	s_cbranch_execz .LBB10_55
; %bb.53:
	s_add_u32 s0, s62, s64
	s_addc_u32 s1, s33, s63
	s_add_u32 s0, s16, s0
	v_lshlrev_b32_e32 v2, 2, v0
	v_mov_b32_e32 v3, 0
	s_addc_u32 s1, s17, s1
	s_lshl_b32 s24, s6, 2
	v_lshl_add_u64 v[6:7], s[0:1], 0, v[2:3]
	s_add_u32 s0, s12, s30
	v_lshlrev_b32_e32 v2, 4, v0
	s_addc_u32 s1, s13, s31
	s_mov_b32 s25, 0
	v_lshl_add_u64 v[2:3], s[0:1], 0, v[2:3]
	v_lshl_add_u64 v[8:9], v[2:3], 0, 8
	s_lshl_b32 s12, s6, 4
	s_mov_b32 s13, s25
	s_mov_b64 s[16:17], 0
	s_mov_b32 s28, 0x7f800000
	s_mov_b32 s29, 0x43700000
	v_mov_b32_e32 v1, 0xc3700000
	s_mov_b32 s30, 0x4020c0c
	v_mov_b32_e32 v10, v0
.LBB10_54:                              ; =>This Inner Loop Header: Depth=1
	global_load_dwordx4 v[2:5], v[8:9], off offset:-8
	v_add_u32_e32 v10, s6, v10
	v_cmp_le_i32_e32 vcc, s7, v10
	s_or_b64 s[16:17], vcc, s[16:17]
	v_mov_b32_e32 v11, 0
	v_mov_b32_e32 v12, 0
	;; [unrolled: 1-line block ×4, first 2 shown]
	v_lshl_add_u64 v[8:9], v[8:9], 0, s[12:13]
	s_waitcnt vmcnt(0)
	v_div_scale_f32 v15, s[0:1], s41, s41, v2
	v_div_scale_f32 v17, s[0:1], s41, s41, v3
	v_rcp_f32_e32 v23, v15
	v_div_scale_f32 v19, s[2:3], s41, s41, v4
	v_rcp_f32_e32 v24, v17
	v_rcp_f32_e32 v25, v19
	v_div_scale_f32 v21, s[4:5], s41, s41, v5
	v_rcp_f32_e32 v26, v21
	v_fma_f32 v27, -v15, v23, 1.0
	v_div_scale_f32 v16, vcc, v2, s41, v2
	v_fma_f32 v28, -v17, v24, 1.0
	v_fmac_f32_e32 v23, v27, v23
	v_div_scale_f32 v18, s[0:1], v3, s41, v3
	v_fma_f32 v29, -v19, v25, 1.0
	v_fmac_f32_e32 v24, v28, v24
	v_mul_f32_e32 v27, v16, v23
	v_div_scale_f32 v20, s[2:3], v4, s41, v4
	v_fmac_f32_e32 v25, v29, v25
	v_mul_f32_e32 v28, v18, v24
	v_fma_f32 v31, -v15, v27, v16
	v_fma_f32 v30, -v21, v26, 1.0
	v_mul_f32_e32 v29, v20, v25
	v_fma_f32 v32, -v17, v28, v18
	v_fmac_f32_e32 v27, v31, v23
	v_div_scale_f32 v22, s[4:5], v5, s41, v5
	v_fmac_f32_e32 v26, v30, v26
	v_fma_f32 v33, -v19, v29, v20
	v_fmac_f32_e32 v28, v32, v24
	v_fma_f32 v15, -v15, v27, v16
	v_mul_f32_e32 v30, v22, v26
	v_fmac_f32_e32 v29, v33, v25
	v_fma_f32 v16, -v17, v28, v18
	v_div_fmas_f32 v15, v15, v23, v27
	s_mov_b64 vcc, s[0:1]
	v_fma_f32 v34, -v21, v30, v22
	v_fma_f32 v17, -v19, v29, v20
	v_div_fixup_f32 v2, v15, s41, v2
	v_div_fmas_f32 v15, v16, v24, v28
	s_mov_b64 vcc, s[2:3]
	v_fmac_f32_e32 v30, v34, v26
	v_med3_f32 v16, v2, s29, v1
	v_div_fixup_f32 v3, v15, s41, v3
	v_div_fmas_f32 v15, v17, v25, v29
	v_cmp_nlg_f32_e64 vcc, |v2|, s28
	v_fma_f32 v18, -v21, v30, v22
	v_div_fixup_f32 v4, v15, s41, v4
	v_cndmask_b32_e32 v2, v16, v2, vcc
	s_mov_b64 vcc, s[4:5]
	v_med3_f32 v16, v3, s29, v1
	v_div_fmas_f32 v15, v18, v26, v30
	v_cmp_nlg_f32_e64 vcc, |v3|, s28
	v_cvt_pk_fp8_f32 v11, v2, v2
	v_div_fixup_f32 v5, v15, s41, v5
	v_cndmask_b32_e32 v2, v16, v3, vcc
	v_med3_f32 v3, v4, s29, v1
	v_cmp_nlg_f32_e64 vcc, |v4|, s28
	v_cvt_pk_fp8_f32 v12, v2, v2
	s_nop 0
	v_cndmask_b32_e32 v2, v3, v4, vcc
	v_med3_f32 v3, v5, s29, v1
	v_cmp_nlg_f32_e64 vcc, |v5|, s28
	v_cvt_pk_fp8_f32 v13, v2, v2
	v_lshlrev_b32_e32 v4, 16, v13
	v_cndmask_b32_e32 v2, v3, v5, vcc
	v_cvt_pk_fp8_f32 v14, v2, v2
	v_lshlrev_b32_e32 v3, 8, v12
	v_and_b32_e32 v2, 0xff, v11
	v_and_b32_e32 v3, 0xff00, v3
	v_perm_b32 v4, v14, v4, s30
	v_or3_b32 v2, v4, v3, v2
	global_store_dword v[6:7], v2, off
	v_lshl_add_u64 v[6:7], v[6:7], 0, s[24:25]
	s_andn2_b64 exec, exec, s[16:17]
	s_cbranch_execnz .LBB10_54
.LBB10_55:
	s_or_b64 exec, exec, s[22:23]
.LBB10_56:
	s_and_b32 s0, s26, 15
	s_mov_b32 s1, 0
	s_cmp_lg_u64 s[0:1], 0
	s_cselect_b64 s[2:3], -1, 0
	s_xor_b64 s[4:5], s[8:9], -1
	s_or_b64 s[2:3], s[4:5], s[2:3]
	s_mov_b64 s[0:1], -1
	s_and_b64 vcc, exec, s[2:3]
	s_cbranch_vccz .LBB10_67
; %bb.57:
	s_sub_i32 s0, 0, s26
	s_bfe_u32 s0, s0, 0x20002
	s_min_i32 s8, s0, s40
	v_cmp_gt_i32_e32 vcc, s8, v0
	s_and_saveexec_b64 s[0:1], vcc
	s_cbranch_execz .LBB10_60
; %bb.58:
	v_mov_b32_e32 v1, 0
	s_add_u32 s2, s14, s10
	s_mov_b32 s7, 0
	v_lshlrev_b32_e32 v2, 2, v0
	v_mov_b32_e32 v3, v1
	s_addc_u32 s3, s15, s11
	v_lshl_add_u64 v[2:3], s[2:3], 0, v[2:3]
	s_lshl_b32 s2, s6, 2
	s_mov_b32 s3, s7
	s_mov_b64 s[4:5], 0
	s_mov_b32 s9, 0x7f800000
	s_mov_b32 s12, 0x43700000
	v_mov_b32_e32 v6, 0xc3700000
	v_mov_b64_e32 v[4:5], v[0:1]
.LBB10_59:                              ; =>This Inner Loop Header: Depth=1
	global_load_dword v1, v[2:3], off
	v_mov_b32_e32 v7, 0
	v_lshl_add_u64 v[8:9], s[20:21], 0, v[4:5]
	v_lshl_add_u64 v[4:5], v[4:5], 0, s[6:7]
	v_lshl_add_u64 v[2:3], v[2:3], 0, s[2:3]
	s_waitcnt vmcnt(0)
	v_div_scale_f32 v10, s[16:17], s27, s27, v1
	v_rcp_f32_e32 v11, v10
	v_div_scale_f32 v12, vcc, v1, s27, v1
	v_fma_f32 v13, -v10, v11, 1.0
	v_fmac_f32_e32 v11, v13, v11
	v_mul_f32_e32 v13, v12, v11
	v_fma_f32 v14, -v10, v13, v12
	v_fmac_f32_e32 v13, v14, v11
	v_fma_f32 v10, -v10, v13, v12
	v_div_fmas_f32 v10, v10, v11, v13
	v_div_fixup_f32 v1, v10, s27, v1
	v_med3_f32 v10, v1, s12, v6
	v_cmp_nlg_f32_e64 vcc, |v1|, s9
	s_nop 1
	v_cndmask_b32_e32 v1, v10, v1, vcc
	v_cvt_pk_fp8_f32 v7, v1, v1
	v_cmp_le_i32_e32 vcc, s8, v4
	s_or_b64 s[4:5], vcc, s[4:5]
	global_store_byte v[8:9], v7, off
	s_andn2_b64 exec, exec, s[4:5]
	s_cbranch_execnz .LBB10_59
.LBB10_60:
	s_or_b64 exec, exec, s[0:1]
	s_sub_i32 s7, s40, s8
	s_ashr_i32 s0, s7, 31
	s_lshr_b32 s0, s0, 30
	s_add_i32 s0, s7, s0
	s_ashr_i32 s24, s0, 2
	s_ashr_i32 s9, s8, 31
	v_cmp_gt_i32_e32 vcc, s24, v0
	s_and_saveexec_b64 s[12:13], vcc
	s_cbranch_execz .LBB10_63
; %bb.61:
	s_add_u32 s0, s8, s62
	s_addc_u32 s1, s9, s33
	s_add_u32 s0, s0, s64
	s_addc_u32 s1, s1, s63
	s_add_u32 s0, s18, s0
	v_lshlrev_b32_e32 v2, 2, v0
	v_mov_b32_e32 v3, 0
	s_addc_u32 s1, s19, s1
	v_lshl_add_u64 v[6:7], s[0:1], 0, v[2:3]
	s_lshl_b32 s16, s6, 2
	s_lshl_b64 s[0:1], s[8:9], 2
	s_add_u32 s0, s14, s0
	s_addc_u32 s1, s15, s1
	s_add_u32 s0, s0, s10
	v_lshlrev_b32_e32 v2, 4, v0
	s_addc_u32 s1, s1, s11
	s_mov_b32 s17, 0
	v_lshl_add_u64 v[2:3], s[0:1], 0, v[2:3]
	v_lshl_add_u64 v[8:9], v[2:3], 0, 8
	s_lshl_b32 s20, s6, 4
	s_mov_b32 s21, s17
	s_mov_b64 s[22:23], 0
	s_mov_b32 s25, 0x7f800000
	s_mov_b32 s26, 0x43700000
	v_mov_b32_e32 v1, 0xc3700000
	s_mov_b32 s28, 0x4020c0c
	v_mov_b32_e32 v10, v0
.LBB10_62:                              ; =>This Inner Loop Header: Depth=1
	global_load_dwordx4 v[2:5], v[8:9], off offset:-8
	v_add_u32_e32 v10, s6, v10
	v_cmp_le_i32_e32 vcc, s24, v10
	s_or_b64 s[22:23], vcc, s[22:23]
	v_mov_b32_e32 v11, 0
	v_mov_b32_e32 v12, 0
	;; [unrolled: 1-line block ×4, first 2 shown]
	v_lshl_add_u64 v[8:9], v[8:9], 0, s[20:21]
	s_waitcnt vmcnt(0)
	v_div_scale_f32 v15, s[0:1], s27, s27, v2
	v_div_scale_f32 v17, s[0:1], s27, s27, v3
	v_rcp_f32_e32 v23, v15
	v_div_scale_f32 v19, s[2:3], s27, s27, v4
	v_rcp_f32_e32 v24, v17
	v_rcp_f32_e32 v25, v19
	v_div_scale_f32 v21, s[4:5], s27, s27, v5
	v_rcp_f32_e32 v26, v21
	v_fma_f32 v27, -v15, v23, 1.0
	v_div_scale_f32 v16, vcc, v2, s27, v2
	v_fma_f32 v28, -v17, v24, 1.0
	v_fmac_f32_e32 v23, v27, v23
	v_div_scale_f32 v18, s[0:1], v3, s27, v3
	v_fma_f32 v29, -v19, v25, 1.0
	v_fmac_f32_e32 v24, v28, v24
	v_mul_f32_e32 v27, v16, v23
	v_div_scale_f32 v20, s[2:3], v4, s27, v4
	v_fmac_f32_e32 v25, v29, v25
	v_mul_f32_e32 v28, v18, v24
	v_fma_f32 v31, -v15, v27, v16
	v_fma_f32 v30, -v21, v26, 1.0
	v_mul_f32_e32 v29, v20, v25
	v_fma_f32 v32, -v17, v28, v18
	v_fmac_f32_e32 v27, v31, v23
	v_div_scale_f32 v22, s[4:5], v5, s27, v5
	v_fmac_f32_e32 v26, v30, v26
	v_fma_f32 v33, -v19, v29, v20
	v_fmac_f32_e32 v28, v32, v24
	v_fma_f32 v15, -v15, v27, v16
	v_mul_f32_e32 v30, v22, v26
	v_fmac_f32_e32 v29, v33, v25
	v_fma_f32 v16, -v17, v28, v18
	v_div_fmas_f32 v15, v15, v23, v27
	s_mov_b64 vcc, s[0:1]
	v_fma_f32 v34, -v21, v30, v22
	v_fma_f32 v17, -v19, v29, v20
	v_div_fixup_f32 v2, v15, s27, v2
	v_div_fmas_f32 v15, v16, v24, v28
	s_mov_b64 vcc, s[2:3]
	v_fmac_f32_e32 v30, v34, v26
	v_med3_f32 v16, v2, s26, v1
	v_div_fixup_f32 v3, v15, s27, v3
	v_div_fmas_f32 v15, v17, v25, v29
	v_cmp_nlg_f32_e64 vcc, |v2|, s25
	v_fma_f32 v18, -v21, v30, v22
	v_div_fixup_f32 v4, v15, s27, v4
	v_cndmask_b32_e32 v2, v16, v2, vcc
	s_mov_b64 vcc, s[4:5]
	v_med3_f32 v16, v3, s26, v1
	v_div_fmas_f32 v15, v18, v26, v30
	v_cmp_nlg_f32_e64 vcc, |v3|, s25
	v_cvt_pk_fp8_f32 v11, v2, v2
	v_div_fixup_f32 v5, v15, s27, v5
	v_cndmask_b32_e32 v2, v16, v3, vcc
	v_med3_f32 v3, v4, s26, v1
	v_cmp_nlg_f32_e64 vcc, |v4|, s25
	v_cvt_pk_fp8_f32 v12, v2, v2
	s_nop 0
	v_cndmask_b32_e32 v2, v3, v4, vcc
	v_med3_f32 v3, v5, s26, v1
	v_cmp_nlg_f32_e64 vcc, |v5|, s25
	v_cvt_pk_fp8_f32 v13, v2, v2
	v_lshlrev_b32_e32 v4, 16, v13
	v_cndmask_b32_e32 v2, v3, v5, vcc
	v_cvt_pk_fp8_f32 v14, v2, v2
	v_lshlrev_b32_e32 v3, 8, v12
	v_and_b32_e32 v2, 0xff, v11
	v_and_b32_e32 v3, 0xff00, v3
	v_perm_b32 v4, v14, v4, s28
	v_or3_b32 v2, v4, v3, v2
	global_store_dword v[6:7], v2, off
	v_lshl_add_u64 v[6:7], v[6:7], 0, s[16:17]
	s_andn2_b64 exec, exec, s[22:23]
	s_cbranch_execnz .LBB10_62
.LBB10_63:
	s_or_b64 exec, exec, s[12:13]
	v_lshl_add_u32 v2, s24, 2, v0
	v_cmp_gt_i32_e32 vcc, s7, v2
	s_and_saveexec_b64 s[0:1], vcc
	s_cbranch_execz .LBB10_66
; %bb.64:
	s_lshl_b64 s[4:5], s[8:9], 2
	s_add_u32 s2, s10, s4
	s_addc_u32 s5, s11, s5
	s_add_u32 s4, s14, s2
	v_ashrrev_i32_e32 v3, 31, v2
	s_addc_u32 s5, s15, s5
	s_lshl_b32 s2, s6, 2
	v_lshl_add_u64 v[4:5], v[2:3], 2, s[4:5]
	s_add_u32 s4, s8, s62
	s_addc_u32 s5, s9, s33
	s_add_u32 s4, s4, s64
	s_addc_u32 s5, s5, s63
	;; [unrolled: 2-line block ×3, first 2 shown]
	s_mov_b32 s3, 0
	v_lshl_add_u64 v[6:7], s[4:5], 0, v[2:3]
	s_mov_b64 s[4:5], 0
	s_mov_b32 s12, 0x7f800000
	s_mov_b32 s13, 0x43700000
	v_mov_b32_e32 v1, 0xc3700000
	s_mov_b64 s[8:9], 0
.LBB10_65:                              ; =>This Inner Loop Header: Depth=1
	global_load_dword v3, v[4:5], off
	v_mov_b32_e32 v10, 0
	v_lshl_add_u64 v[8:9], v[6:7], 0, s[8:9]
	s_add_u32 s8, s8, s6
	s_addc_u32 s9, s9, 0
	v_lshl_add_u64 v[4:5], v[4:5], 0, s[2:3]
	s_waitcnt vmcnt(0)
	v_div_scale_f32 v11, s[16:17], s27, s27, v3
	v_rcp_f32_e32 v12, v11
	v_div_scale_f32 v13, vcc, v3, s27, v3
	v_fma_f32 v14, -v11, v12, 1.0
	v_fmac_f32_e32 v12, v14, v12
	v_mul_f32_e32 v14, v13, v12
	v_fma_f32 v15, -v11, v14, v13
	v_fmac_f32_e32 v14, v15, v12
	v_fma_f32 v11, -v11, v14, v13
	v_div_fmas_f32 v11, v11, v12, v14
	v_div_fixup_f32 v3, v11, s27, v3
	v_med3_f32 v11, v3, s13, v1
	v_cmp_nlg_f32_e64 vcc, |v3|, s12
	s_nop 1
	v_cndmask_b32_e32 v3, v11, v3, vcc
	v_cvt_pk_fp8_f32 v10, v3, v3
	v_add_u32_e32 v3, s8, v2
	v_cmp_le_i32_e32 vcc, s7, v3
	s_or_b64 s[4:5], vcc, s[4:5]
	global_store_byte v[8:9], v10, off
	s_andn2_b64 exec, exec, s[4:5]
	s_cbranch_execnz .LBB10_65
.LBB10_66:
	s_or_b64 exec, exec, s[0:1]
	s_mov_b64 s[0:1], 0
.LBB10_67:
	s_and_b64 vcc, exec, s[0:1]
	s_cbranch_vccz .LBB10_71
; %bb.68:
	s_ashr_i32 s7, s40, 2
	v_cmp_gt_i32_e32 vcc, s7, v0
	s_and_saveexec_b64 s[0:1], vcc
	s_cbranch_execz .LBB10_71
; %bb.69:
	s_add_u32 s0, s62, s64
	s_addc_u32 s1, s33, s63
	s_add_u32 s0, s18, s0
	v_lshlrev_b32_e32 v2, 2, v0
	v_mov_b32_e32 v3, 0
	s_addc_u32 s1, s19, s1
	s_lshl_b32 s8, s6, 2
	v_lshl_add_u64 v[6:7], s[0:1], 0, v[2:3]
	s_add_u32 s0, s14, s10
	v_lshlrev_b32_e32 v2, 4, v0
	s_addc_u32 s1, s15, s11
	s_mov_b32 s9, 0
	v_lshl_add_u64 v[2:3], s[0:1], 0, v[2:3]
	v_lshl_add_u64 v[8:9], v[2:3], 0, 8
	s_lshl_b32 s10, s6, 4
	s_mov_b32 s11, s9
	s_mov_b64 s[12:13], 0
	s_mov_b32 s14, 0x7f800000
	s_mov_b32 s15, 0x43700000
	v_mov_b32_e32 v1, 0xc3700000
	s_mov_b32 s16, 0x4020c0c
.LBB10_70:                              ; =>This Inner Loop Header: Depth=1
	global_load_dwordx4 v[2:5], v[8:9], off offset:-8
	v_add_u32_e32 v0, s6, v0
	v_cmp_le_i32_e32 vcc, s7, v0
	s_or_b64 s[12:13], vcc, s[12:13]
	v_mov_b32_e32 v10, 0
	v_mov_b32_e32 v11, 0
	;; [unrolled: 1-line block ×4, first 2 shown]
	v_lshl_add_u64 v[8:9], v[8:9], 0, s[10:11]
	s_waitcnt vmcnt(0)
	v_div_scale_f32 v14, s[0:1], s27, s27, v2
	v_div_scale_f32 v16, s[0:1], s27, s27, v3
	v_rcp_f32_e32 v22, v14
	v_div_scale_f32 v18, s[2:3], s27, s27, v4
	v_rcp_f32_e32 v23, v16
	v_rcp_f32_e32 v24, v18
	v_div_scale_f32 v20, s[4:5], s27, s27, v5
	v_rcp_f32_e32 v25, v20
	v_fma_f32 v26, -v14, v22, 1.0
	v_div_scale_f32 v15, vcc, v2, s27, v2
	v_fma_f32 v27, -v16, v23, 1.0
	v_fmac_f32_e32 v22, v26, v22
	v_div_scale_f32 v17, s[0:1], v3, s27, v3
	v_fma_f32 v28, -v18, v24, 1.0
	v_fmac_f32_e32 v23, v27, v23
	v_mul_f32_e32 v26, v15, v22
	v_div_scale_f32 v19, s[2:3], v4, s27, v4
	v_fmac_f32_e32 v24, v28, v24
	v_mul_f32_e32 v27, v17, v23
	v_fma_f32 v30, -v14, v26, v15
	v_fma_f32 v29, -v20, v25, 1.0
	v_mul_f32_e32 v28, v19, v24
	v_fma_f32 v31, -v16, v27, v17
	v_fmac_f32_e32 v26, v30, v22
	v_div_scale_f32 v21, s[4:5], v5, s27, v5
	v_fmac_f32_e32 v25, v29, v25
	v_fma_f32 v32, -v18, v28, v19
	v_fmac_f32_e32 v27, v31, v23
	v_fma_f32 v14, -v14, v26, v15
	v_mul_f32_e32 v29, v21, v25
	v_fmac_f32_e32 v28, v32, v24
	v_fma_f32 v15, -v16, v27, v17
	v_div_fmas_f32 v14, v14, v22, v26
	s_mov_b64 vcc, s[0:1]
	v_fma_f32 v33, -v20, v29, v21
	v_fma_f32 v16, -v18, v28, v19
	v_div_fixup_f32 v2, v14, s27, v2
	v_div_fmas_f32 v14, v15, v23, v27
	s_mov_b64 vcc, s[2:3]
	v_fmac_f32_e32 v29, v33, v25
	v_med3_f32 v15, v2, s15, v1
	v_div_fixup_f32 v3, v14, s27, v3
	v_div_fmas_f32 v14, v16, v24, v28
	v_cmp_nlg_f32_e64 vcc, |v2|, s14
	v_fma_f32 v17, -v20, v29, v21
	v_div_fixup_f32 v4, v14, s27, v4
	v_cndmask_b32_e32 v2, v15, v2, vcc
	s_mov_b64 vcc, s[4:5]
	v_med3_f32 v15, v3, s15, v1
	v_div_fmas_f32 v14, v17, v25, v29
	v_cmp_nlg_f32_e64 vcc, |v3|, s14
	v_cvt_pk_fp8_f32 v10, v2, v2
	v_div_fixup_f32 v5, v14, s27, v5
	v_cndmask_b32_e32 v2, v15, v3, vcc
	v_med3_f32 v3, v4, s15, v1
	v_cmp_nlg_f32_e64 vcc, |v4|, s14
	v_cvt_pk_fp8_f32 v11, v2, v2
	s_nop 0
	v_cndmask_b32_e32 v2, v3, v4, vcc
	v_med3_f32 v3, v5, s15, v1
	v_cmp_nlg_f32_e64 vcc, |v5|, s14
	v_cvt_pk_fp8_f32 v12, v2, v2
	v_lshlrev_b32_e32 v4, 16, v12
	v_cndmask_b32_e32 v2, v3, v5, vcc
	v_cvt_pk_fp8_f32 v13, v2, v2
	v_lshlrev_b32_e32 v3, 8, v11
	v_and_b32_e32 v2, 0xff, v10
	v_and_b32_e32 v3, 0xff00, v3
	v_perm_b32 v4, v13, v4, s16
	v_or3_b32 v2, v4, v3, v2
	global_store_dword v[6:7], v2, off
	v_lshl_add_u64 v[6:7], v[6:7], 0, s[8:9]
	s_andn2_b64 exec, exec, s[12:13]
	s_cbranch_execnz .LBB10_70
.LBB10_71:
	s_endpgm
.LBB10_72:
                                        ; implicit-def: $sgpr4_sgpr5
	s_branch .LBB10_3
	.section	.rodata,"a",@progbits
	.p2align	6, 0x0
	.amdhsa_kernel _ZN4vllm30reshape_and_cache_flash_kernelIfhLNS_18Fp8KVCacheDataTypeE1EEEvPKT_S4_PT0_S6_PKlllllliiiPKfSA_i
		.amdhsa_group_segment_fixed_size 0
		.amdhsa_private_segment_fixed_size 0
		.amdhsa_kernarg_size 376
		.amdhsa_user_sgpr_count 2
		.amdhsa_user_sgpr_dispatch_ptr 0
		.amdhsa_user_sgpr_queue_ptr 0
		.amdhsa_user_sgpr_kernarg_segment_ptr 1
		.amdhsa_user_sgpr_dispatch_id 0
		.amdhsa_user_sgpr_kernarg_preload_length 0
		.amdhsa_user_sgpr_kernarg_preload_offset 0
		.amdhsa_user_sgpr_private_segment_size 0
		.amdhsa_uses_dynamic_stack 0
		.amdhsa_enable_private_segment 0
		.amdhsa_system_sgpr_workgroup_id_x 1
		.amdhsa_system_sgpr_workgroup_id_y 0
		.amdhsa_system_sgpr_workgroup_id_z 0
		.amdhsa_system_sgpr_workgroup_info 0
		.amdhsa_system_vgpr_workitem_id 0
		.amdhsa_next_free_vgpr 64
		.amdhsa_next_free_sgpr 72
		.amdhsa_accum_offset 64
		.amdhsa_reserve_vcc 1
		.amdhsa_float_round_mode_32 0
		.amdhsa_float_round_mode_16_64 0
		.amdhsa_float_denorm_mode_32 3
		.amdhsa_float_denorm_mode_16_64 3
		.amdhsa_dx10_clamp 1
		.amdhsa_ieee_mode 1
		.amdhsa_fp16_overflow 0
		.amdhsa_tg_split 0
		.amdhsa_exception_fp_ieee_invalid_op 0
		.amdhsa_exception_fp_denorm_src 0
		.amdhsa_exception_fp_ieee_div_zero 0
		.amdhsa_exception_fp_ieee_overflow 0
		.amdhsa_exception_fp_ieee_underflow 0
		.amdhsa_exception_fp_ieee_inexact 0
		.amdhsa_exception_int_div_zero 0
	.end_amdhsa_kernel
	.section	.text._ZN4vllm30reshape_and_cache_flash_kernelIfhLNS_18Fp8KVCacheDataTypeE1EEEvPKT_S4_PT0_S6_PKlllllliiiPKfSA_i,"axG",@progbits,_ZN4vllm30reshape_and_cache_flash_kernelIfhLNS_18Fp8KVCacheDataTypeE1EEEvPKT_S4_PT0_S6_PKlllllliiiPKfSA_i,comdat
.Lfunc_end10:
	.size	_ZN4vllm30reshape_and_cache_flash_kernelIfhLNS_18Fp8KVCacheDataTypeE1EEEvPKT_S4_PT0_S6_PKlllllliiiPKfSA_i, .Lfunc_end10-_ZN4vllm30reshape_and_cache_flash_kernelIfhLNS_18Fp8KVCacheDataTypeE1EEEvPKT_S4_PT0_S6_PKlllllliiiPKfSA_i
                                        ; -- End function
	.section	.AMDGPU.csdata,"",@progbits
; Kernel info:
; codeLenInByte = 8740
; NumSgprs: 78
; NumVgprs: 64
; NumAgprs: 0
; TotalNumVgprs: 64
; ScratchSize: 0
; MemoryBound: 0
; FloatMode: 240
; IeeeMode: 1
; LDSByteSize: 0 bytes/workgroup (compile time only)
; SGPRBlocks: 9
; VGPRBlocks: 7
; NumSGPRsForWavesPerEU: 78
; NumVGPRsForWavesPerEU: 64
; AccumOffset: 64
; Occupancy: 8
; WaveLimiterHint : 0
; COMPUTE_PGM_RSRC2:SCRATCH_EN: 0
; COMPUTE_PGM_RSRC2:USER_SGPR: 2
; COMPUTE_PGM_RSRC2:TRAP_HANDLER: 0
; COMPUTE_PGM_RSRC2:TGID_X_EN: 1
; COMPUTE_PGM_RSRC2:TGID_Y_EN: 0
; COMPUTE_PGM_RSRC2:TGID_Z_EN: 0
; COMPUTE_PGM_RSRC2:TIDIG_COMP_CNT: 0
; COMPUTE_PGM_RSRC3_GFX90A:ACCUM_OFFSET: 15
; COMPUTE_PGM_RSRC3_GFX90A:TG_SPLIT: 0
	.section	.text._ZN4vllm30reshape_and_cache_flash_kernelIthLNS_18Fp8KVCacheDataTypeE1EEEvPKT_S4_PT0_S6_PKlllllliiiPKfSA_i,"axG",@progbits,_ZN4vllm30reshape_and_cache_flash_kernelIthLNS_18Fp8KVCacheDataTypeE1EEEvPKT_S4_PT0_S6_PKlllllliiiPKfSA_i,comdat
	.protected	_ZN4vllm30reshape_and_cache_flash_kernelIthLNS_18Fp8KVCacheDataTypeE1EEEvPKT_S4_PT0_S6_PKlllllliiiPKfSA_i ; -- Begin function _ZN4vllm30reshape_and_cache_flash_kernelIthLNS_18Fp8KVCacheDataTypeE1EEEvPKT_S4_PT0_S6_PKlllllliiiPKfSA_i
	.globl	_ZN4vllm30reshape_and_cache_flash_kernelIthLNS_18Fp8KVCacheDataTypeE1EEEvPKT_S4_PT0_S6_PKlllllliiiPKfSA_i
	.p2align	8
	.type	_ZN4vllm30reshape_and_cache_flash_kernelIthLNS_18Fp8KVCacheDataTypeE1EEEvPKT_S4_PT0_S6_PKlllllliiiPKfSA_i,@function
_ZN4vllm30reshape_and_cache_flash_kernelIthLNS_18Fp8KVCacheDataTypeE1EEEvPKT_S4_PT0_S6_PKlllllliiiPKfSA_i: ; @_ZN4vllm30reshape_and_cache_flash_kernelIthLNS_18Fp8KVCacheDataTypeE1EEEvPKT_S4_PT0_S6_PKlllllliiiPKfSA_i
; %bb.0:
	s_load_dwordx2 s[4:5], s[0:1], 0x20
	s_mov_b32 s3, 0
	s_lshl_b64 s[6:7], s[2:3], 3
	s_waitcnt lgkmcnt(0)
	s_add_u32 s4, s4, s6
	s_addc_u32 s5, s5, s7
	s_load_dwordx2 s[28:29], s[4:5], 0x0
	s_waitcnt lgkmcnt(0)
	v_cmp_lt_i64_e64 s[4:5], s[28:29], 0
	s_and_b64 vcc, exec, s[4:5]
	s_cbranch_vccnz .LBB11_71
; %bb.1:
	s_load_dwordx4 s[12:15], s[0:1], 0x50
	s_load_dwordx8 s[16:23], s[0:1], 0x0
	s_waitcnt lgkmcnt(0)
	s_ashr_i32 s15, s14, 31
	s_or_b64 s[4:5], s[28:29], s[14:15]
	s_mov_b32 s4, s3
	s_cmp_lg_u64 s[4:5], 0
	s_cbranch_scc0 .LBB11_72
; %bb.2:
	s_add_u32 s4, s14, s15
	s_mov_b32 s8, s15
	s_mov_b32 s9, s15
	s_addc_u32 s5, s15, s15
	s_xor_b64 s[10:11], s[4:5], s[8:9]
	v_cvt_f32_u32_e32 v1, s10
	v_cvt_f32_u32_e32 v2, s11
	s_sub_u32 s3, 0, s10
	s_subb_u32 s4, 0, s11
	v_fmamk_f32 v1, v2, 0x4f800000, v1
	v_rcp_f32_e32 v1, v1
	s_nop 0
	v_mul_f32_e32 v1, 0x5f7ffffc, v1
	v_mul_f32_e32 v2, 0x2f800000, v1
	v_trunc_f32_e32 v2, v2
	v_fmamk_f32 v1, v2, 0xcf800000, v1
	v_cvt_u32_f32_e32 v2, v2
	v_cvt_u32_f32_e32 v1, v1
	v_readfirstlane_b32 s5, v2
	v_readfirstlane_b32 s24, v1
	s_mul_i32 s25, s3, s5
	s_mul_hi_u32 s27, s3, s24
	s_mul_i32 s26, s4, s24
	s_add_i32 s25, s27, s25
	s_add_i32 s25, s25, s26
	s_mul_i32 s30, s3, s24
	s_mul_hi_u32 s26, s24, s25
	s_mul_i32 s27, s24, s25
	s_mul_hi_u32 s24, s24, s30
	s_add_u32 s24, s24, s27
	s_addc_u32 s26, 0, s26
	s_mul_hi_u32 s31, s5, s30
	s_mul_i32 s30, s5, s30
	s_add_u32 s24, s24, s30
	s_mul_hi_u32 s27, s5, s25
	s_addc_u32 s24, s26, s31
	s_addc_u32 s26, s27, 0
	s_mul_i32 s25, s5, s25
	s_add_u32 s24, s24, s25
	s_addc_u32 s25, 0, s26
	v_add_co_u32_e32 v1, vcc, s24, v1
	s_cmp_lg_u64 vcc, 0
	s_addc_u32 s5, s5, s25
	v_readfirstlane_b32 s25, v1
	s_mul_i32 s24, s3, s5
	s_mul_hi_u32 s26, s3, s25
	s_add_i32 s24, s26, s24
	s_mul_i32 s4, s4, s25
	s_add_i32 s24, s24, s4
	s_mul_i32 s3, s3, s25
	s_mul_hi_u32 s26, s5, s3
	s_mul_i32 s27, s5, s3
	s_mul_i32 s31, s25, s24
	s_mul_hi_u32 s3, s25, s3
	s_mul_hi_u32 s30, s25, s24
	s_add_u32 s3, s3, s31
	s_addc_u32 s25, 0, s30
	s_add_u32 s3, s3, s27
	s_mul_hi_u32 s4, s5, s24
	s_addc_u32 s3, s25, s26
	s_addc_u32 s4, s4, 0
	s_mul_i32 s24, s5, s24
	s_add_u32 s3, s3, s24
	s_addc_u32 s4, 0, s4
	v_add_co_u32_e32 v1, vcc, s3, v1
	s_cmp_lg_u64 vcc, 0
	s_addc_u32 s3, s5, s4
	s_ashr_i32 s24, s29, 31
	s_add_u32 s4, s28, s24
	s_mov_b32 s25, s24
	s_addc_u32 s5, s29, s24
	s_xor_b64 s[26:27], s[4:5], s[24:25]
	v_readfirstlane_b32 s30, v1
	s_mul_i32 s5, s26, s3
	s_mul_hi_u32 s31, s26, s30
	s_mul_hi_u32 s4, s26, s3
	s_add_u32 s5, s31, s5
	s_addc_u32 s4, 0, s4
	s_mul_hi_u32 s33, s27, s30
	s_mul_i32 s30, s27, s30
	s_add_u32 s5, s5, s30
	s_mul_hi_u32 s31, s27, s3
	s_addc_u32 s4, s4, s33
	s_addc_u32 s5, s31, 0
	s_mul_i32 s3, s27, s3
	s_add_u32 s3, s4, s3
	s_addc_u32 s30, 0, s5
	s_mul_i32 s4, s10, s30
	s_mul_hi_u32 s5, s10, s3
	s_add_i32 s4, s5, s4
	s_mul_i32 s5, s11, s3
	s_add_i32 s31, s4, s5
	s_mul_i32 s5, s10, s3
	v_mov_b32_e32 v1, s5
	s_sub_i32 s4, s27, s31
	v_sub_co_u32_e32 v1, vcc, s26, v1
	s_cmp_lg_u64 vcc, 0
	s_subb_u32 s26, s4, s11
	v_subrev_co_u32_e64 v2, s[4:5], s10, v1
	s_cmp_lg_u64 s[4:5], 0
	s_subb_u32 s4, s26, 0
	s_cmp_ge_u32 s4, s11
	v_readfirstlane_b32 s26, v2
	s_cselect_b32 s5, -1, 0
	s_cmp_ge_u32 s26, s10
	s_cselect_b32 s26, -1, 0
	s_cmp_eq_u32 s4, s11
	s_cselect_b32 s4, s26, s5
	s_add_u32 s5, s3, 1
	s_addc_u32 s26, s30, 0
	s_add_u32 s33, s3, 2
	s_addc_u32 s34, s30, 0
	s_cmp_lg_u32 s4, 0
	s_cselect_b32 s4, s33, s5
	s_cselect_b32 s5, s34, s26
	s_cmp_lg_u64 vcc, 0
	s_subb_u32 s26, s27, s31
	s_cmp_ge_u32 s26, s11
	v_readfirstlane_b32 s31, v1
	s_cselect_b32 s27, -1, 0
	s_cmp_ge_u32 s31, s10
	s_cselect_b32 s10, -1, 0
	s_cmp_eq_u32 s26, s11
	s_cselect_b32 s10, s10, s27
	s_cmp_lg_u32 s10, 0
	s_cselect_b32 s5, s5, s30
	s_cselect_b32 s4, s4, s3
	s_xor_b64 s[8:9], s[24:25], s[8:9]
	s_xor_b64 s[4:5], s[4:5], s[8:9]
	s_sub_u32 s36, s4, s8
	s_subb_u32 s37, s5, s9
	s_cbranch_execnz .LBB11_4
.LBB11_3:
	v_cvt_f32_u32_e32 v1, s14
	s_sub_i32 s3, 0, s14
	s_mov_b32 s37, 0
	v_rcp_iflag_f32_e32 v1, v1
	s_nop 0
	v_mul_f32_e32 v1, 0x4f7ffffe, v1
	v_cvt_u32_f32_e32 v1, v1
	s_nop 0
	v_readfirstlane_b32 s4, v1
	s_mul_i32 s3, s3, s4
	s_mul_hi_u32 s3, s4, s3
	s_add_i32 s4, s4, s3
	s_mul_hi_u32 s3, s28, s4
	s_mul_i32 s5, s3, s14
	s_sub_i32 s5, s28, s5
	s_add_i32 s4, s3, 1
	s_sub_i32 s6, s5, s14
	s_cmp_ge_u32 s5, s14
	s_cselect_b32 s3, s4, s3
	s_cselect_b32 s5, s6, s5
	s_add_i32 s4, s3, 1
	s_cmp_ge_u32 s5, s14
	s_cselect_b32 s36, s4, s3
.LBB11_4:
	s_mul_i32 s3, s36, s15
	s_mul_hi_u32 s15, s36, s14
	s_add_i32 s3, s15, s3
	s_mul_i32 s15, s37, s14
	s_load_dwordx8 s[4:11], s[0:1], 0x28
	s_load_dwordx2 s[30:31], s[0:1], 0x48
	s_load_dwordx4 s[24:27], s[0:1], 0x60
	s_load_dword s59, s[0:1], 0x70
	s_add_i32 s3, s3, s15
	s_mul_i32 s14, s36, s14
	s_sub_u32 s28, s28, s14
	s_subb_u32 s29, s29, s3
	s_waitcnt lgkmcnt(0)
	s_mul_i32 s3, s2, s11
	s_mul_hi_u32 s11, s2, s10
	s_add_i32 s11, s11, s3
	s_mul_i32 s10, s2, s10
	s_lshl_b64 s[34:35], s[10:11], 1
	s_add_u32 s10, s16, s34
	s_mul_i32 s3, s2, s31
	s_mul_hi_u32 s14, s2, s30
	s_addc_u32 s11, s17, s35
	s_add_i32 s3, s14, s3
	s_mul_i32 s2, s2, s30
	s_lshl_b64 s[14:15], s[2:3], 1
	s_add_u32 s30, s18, s14
	s_mul_i32 s2, s36, s5
	s_mul_hi_u32 s3, s36, s4
	s_addc_u32 s31, s19, s15
	s_add_i32 s2, s3, s2
	s_mul_i32 s3, s37, s4
	s_add_i32 s33, s2, s3
	s_mul_i32 s56, s36, s4
	s_add_u32 s2, s20, s56
	s_mul_i32 s4, s28, s7
	s_mul_hi_u32 s5, s28, s6
	s_addc_u32 s3, s21, s33
	s_add_i32 s4, s5, s4
	s_mul_i32 s29, s29, s6
	s_add_i32 s57, s4, s29
	s_mul_i32 s58, s28, s6
	s_add_u32 s4, s2, s58
	s_addc_u32 s5, s3, s57
	s_add_u32 s2, s22, s56
	s_addc_u32 s3, s23, s33
	s_add_u32 s28, s2, s58
	s_addc_u32 s29, s3, s57
	s_ashr_i32 s3, s13, 31
	s_mov_b32 s2, s13
	s_cmp_lg_u64 s[2:3], s[8:9]
	s_cselect_b64 s[2:3], -1, 0
	s_cmp_lg_u32 s59, 0
	s_cselect_b64 s[6:7], -1, 0
	s_or_b64 s[6:7], s[2:3], s[6:7]
	s_mov_b64 s[2:3], -1
	s_and_b64 vcc, exec, s[6:7]
	s_cbranch_vccz .LBB11_39
; %bb.5:
	v_lshrrev_b32_e32 v1, 5, v0
	v_cmp_gt_i32_e32 vcc, s12, v1
	s_and_saveexec_b64 s[6:7], vcc
	s_cbranch_execz .LBB11_38
; %bb.6:
	s_load_dword s2, s[0:1], 0x84
	s_and_b32 s3, s13, 7
	v_and_b32_e32 v6, 31, v0
	v_mov_b32_e32 v9, 0
	v_lshlrev_b32_e32 v8, 3, v6
	s_waitcnt lgkmcnt(0)
	s_bfe_u32 s60, s2, 0xb0005
	s_cmp_eq_u32 s3, 0
	s_cselect_b64 s[44:45], -1, 0
	s_ashr_i32 s61, s13, 3
	s_add_u32 s36, s58, s56
	s_addc_u32 s37, s57, s33
	v_mov_b64_e32 v[2:3], s[36:37]
	v_mad_u64_u32 v[2:3], s[36:37], s8, v1, v[2:3]
	v_mov_b32_e32 v4, v3
	v_mad_u64_u32 v[4:5], s[36:37], s9, v1, v[4:5]
	s_mul_i32 s36, s9, s60
	s_mul_hi_u32 s37, s8, s60
	s_add_i32 s37, s37, s36
	s_add_u32 s38, s16, s34
	s_addc_u32 s39, s17, s35
	v_mov_b32_e32 v3, v4
	s_add_u32 s40, s18, s14
	v_lshl_add_u64 v[4:5], v[2:3], 0, v[8:9]
	v_lshlrev_b32_e32 v8, 4, v6
	s_addc_u32 s41, s19, s15
	v_cmp_gt_i32_e64 s[2:3], s61, v6
	v_mov_b32_e32 v7, v9
	v_lshl_add_u64 v[10:11], s[20:21], 0, v[4:5]
	s_mul_i32 s36, s8, s60
	v_lshl_add_u64 v[12:13], s[38:39], 0, v[8:9]
	v_mul_lo_u32 v14, s13, v1
	s_mul_i32 s62, s13, s60
	v_lshl_add_u64 v[16:17], s[20:21], 0, v[2:3]
	v_lshl_add_u64 v[18:19], s[22:23], 0, v[4:5]
	;; [unrolled: 1-line block ×4, first 2 shown]
	s_mov_b64 s[42:43], 0
	s_xor_b64 s[44:45], s[44:45], -1
	s_mov_b32 s63, 0x7f800000
	s_mov_b32 s64, 0x43700000
	;; [unrolled: 1-line block ×3, first 2 shown]
	s_mov_b64 s[46:47], 0x100
	s_mov_b64 s[48:49], 0x200
	v_mov_b32_e32 v38, 0xc3700000
	v_mov_b32_e32 v39, 8
	s_branch .LBB11_9
.LBB11_7:                               ;   in Loop: Header=BB11_9 Depth=1
	s_or_b64 exec, exec, s[52:53]
.LBB11_8:                               ;   in Loop: Header=BB11_9 Depth=1
	s_or_b64 exec, exec, s[50:51]
	v_add_u32_e32 v1, s60, v1
	v_cmp_le_i32_e32 vcc, s12, v1
	v_lshl_add_u64 v[10:11], v[10:11], 0, s[36:37]
	v_add_u32_e32 v14, s62, v14
	v_lshl_add_u64 v[16:17], v[16:17], 0, s[36:37]
	v_lshl_add_u64 v[18:19], v[18:19], 0, s[36:37]
	s_or_b64 s[42:43], vcc, s[42:43]
	v_lshl_add_u64 v[22:23], v[22:23], 0, s[36:37]
	s_andn2_b64 exec, exec, s[42:43]
	s_cbranch_execz .LBB11_38
.LBB11_9:                               ; =>This Loop Header: Depth=1
                                        ;     Child Loop BB11_14 Depth 2
                                        ;     Child Loop BB11_17 Depth 2
	;; [unrolled: 1-line block ×6, first 2 shown]
	v_mul_lo_u32 v2, v1, s59
	v_ashrrev_i32_e32 v3, 31, v2
	v_lshlrev_b64 v[2:3], 2, v[2:3]
	v_lshl_add_u64 v[4:5], s[24:25], 0, v[2:3]
	v_lshl_add_u64 v[2:3], s[26:27], 0, v[2:3]
	global_load_dword v41, v[4:5], off
	global_load_dword v40, v[2:3], off
	v_mul_lo_u32 v28, v1, s13
	v_ashrrev_i32_e32 v29, 31, v28
	v_lshl_add_u64 v[2:3], v[28:29], 1, s[10:11]
	v_mad_u64_u32 v[26:27], s[50:51], v1, s8, 0
	v_mov_b32_e32 v4, v27
	v_and_b32_e32 v8, 15, v2
	v_ashrrev_i32_e32 v15, 31, v14
	v_mad_u64_u32 v[4:5], s[50:51], v1, s9, v[4:5]
	v_cmp_ne_u64_e32 vcc, 0, v[8:9]
	v_lshlrev_b64 v[24:25], 1, v[14:15]
	v_mov_b32_e32 v27, v4
	s_or_b64 s[50:51], s[44:45], vcc
	s_and_saveexec_b64 s[52:53], s[50:51]
	s_xor_b64 s[50:51], exec, s[52:53]
	s_cbranch_execz .LBB11_19
; %bb.10:                               ;   in Loop: Header=BB11_9 Depth=1
	v_sub_u32_e32 v4, 0, v2
	v_bfe_u32 v4, v4, 1, 3
	v_min_i32_e32 v30, s13, v4
	v_cmp_gt_i32_e32 vcc, v30, v6
	s_and_saveexec_b64 s[52:53], vcc
	s_cbranch_execz .LBB11_12
; %bb.11:                               ;   in Loop: Header=BB11_9 Depth=1
	v_lshlrev_b32_e32 v8, 1, v6
	v_lshl_add_u64 v[2:3], v[2:3], 0, v[8:9]
	global_load_ushort v2, v[2:3], off
	s_waitcnt vmcnt(0)
	v_cvt_f32_f16_e32 v2, v2
	v_div_scale_f32 v3, s[54:55], v41, v41, v2
	v_rcp_f32_e32 v4, v3
	v_div_scale_f32 v5, vcc, v2, v41, v2
	v_fma_f32 v8, -v3, v4, 1.0
	v_fmac_f32_e32 v4, v8, v4
	v_mul_f32_e32 v8, v5, v4
	v_fma_f32 v15, -v3, v8, v5
	v_fmac_f32_e32 v8, v15, v4
	v_fma_f32 v3, -v3, v8, v5
	v_div_fmas_f32 v3, v3, v4, v8
	v_div_fixup_f32 v2, v3, v41, v2
	v_cvt_f16_f32_e32 v2, v2
	v_mov_b32_e32 v4, v9
	v_cvt_f32_f16_e32 v2, v2
	v_med3_f32 v3, v2, s64, v38
	v_cmp_nlg_f32_e64 vcc, |v2|, s63
	s_nop 1
	v_cndmask_b32_e32 v2, v3, v2, vcc
	v_cvt_pk_fp8_f32 v4, v2, v2
	v_lshl_add_u64 v[2:3], s[4:5], 0, v[26:27]
	v_lshl_add_u64 v[2:3], v[2:3], 0, v[6:7]
	global_store_byte v[2:3], v4, off
.LBB11_12:                              ;   in Loop: Header=BB11_9 Depth=1
	s_or_b64 exec, exec, s[52:53]
	v_sub_u32_e32 v8, s13, v30
	v_ashrrev_i32_e32 v2, 31, v8
	v_lshrrev_b32_e32 v2, 29, v2
	v_add_u32_e32 v2, v8, v2
	v_ashrrev_i32_e32 v31, 31, v30
	v_ashrrev_i32_e32 v15, 3, v2
	v_cmp_gt_i32_e32 vcc, v15, v6
	v_lshl_add_u64 v[32:33], v[30:31], 1, v[24:25]
	s_and_saveexec_b64 s[52:53], vcc
	s_cbranch_execz .LBB11_15
; %bb.13:                               ;   in Loop: Header=BB11_9 Depth=1
	v_lshl_add_u64 v[34:35], v[10:11], 0, v[30:31]
	v_lshl_add_u64 v[36:37], v[12:13], 0, v[32:33]
	s_mov_b64 s[54:55], 0
	v_mov_b32_e32 v42, v6
.LBB11_14:                              ;   Parent Loop BB11_9 Depth=1
                                        ; =>  This Inner Loop Header: Depth=2
	global_load_dwordx4 v[2:5], v[36:37], off
	v_add_u32_e32 v42, 32, v42
	v_lshl_add_u64 v[36:37], v[36:37], 0, s[48:49]
	s_waitcnt vmcnt(0)
	v_cvt_f32_f16_e32 v43, v2
	v_cvt_f32_f16_sdwa v2, v2 dst_sel:DWORD dst_unused:UNUSED_PAD src0_sel:WORD_1
	v_div_scale_f32 v44, s[66:67], v41, v41, v43
	v_rcp_f32_e32 v45, v44
	s_nop 0
	v_fma_f32 v46, -v44, v45, 1.0
	v_fmac_f32_e32 v45, v46, v45
	v_div_scale_f32 v46, vcc, v43, v41, v43
	v_mul_f32_e32 v47, v46, v45
	v_fma_f32 v48, -v44, v47, v46
	v_fmac_f32_e32 v47, v48, v45
	v_fma_f32 v44, -v44, v47, v46
	v_div_fmas_f32 v44, v44, v45, v47
	v_div_fixup_f32 v43, v44, v41, v43
	v_cvt_f16_f32_e32 v43, v43
	v_cvt_f32_f16_e32 v43, v43
	v_cmp_nlg_f32_e64 vcc, |v43|, s63
	v_med3_f32 v44, v43, s64, v38
	s_nop 0
	v_cndmask_b32_e32 v44, v44, v43, vcc
	v_mov_b32_e32 v43, 0
	v_cvt_pk_fp8_f32 v43, v44, v44
	v_div_scale_f32 v44, s[66:67], v41, v41, v2
	v_rcp_f32_e32 v45, v44
	s_nop 0
	v_fma_f32 v46, -v44, v45, 1.0
	v_fmac_f32_e32 v45, v46, v45
	v_div_scale_f32 v46, vcc, v2, v41, v2
	v_mul_f32_e32 v47, v46, v45
	v_fma_f32 v48, -v44, v47, v46
	v_fmac_f32_e32 v47, v48, v45
	v_fma_f32 v44, -v44, v47, v46
	v_div_fmas_f32 v44, v44, v45, v47
	v_div_fixup_f32 v2, v44, v41, v2
	v_cvt_f16_f32_e32 v2, v2
	v_cvt_f32_f16_e32 v2, v2
	v_cmp_nlg_f32_e64 vcc, |v2|, s63
	v_med3_f32 v44, v2, s64, v38
	s_nop 0
	v_cndmask_b32_e32 v2, v44, v2, vcc
	v_mov_b32_e32 v44, 0
	v_cvt_pk_fp8_f32 v44, v2, v2
	v_cvt_f32_f16_e32 v2, v3
	v_div_scale_f32 v45, s[66:67], v41, v41, v2
	v_rcp_f32_e32 v46, v45
	s_nop 0
	v_fma_f32 v47, -v45, v46, 1.0
	v_fmac_f32_e32 v46, v47, v46
	v_div_scale_f32 v47, vcc, v2, v41, v2
	v_mul_f32_e32 v48, v47, v46
	v_fma_f32 v49, -v45, v48, v47
	v_fmac_f32_e32 v48, v49, v46
	v_fma_f32 v45, -v45, v48, v47
	v_div_fmas_f32 v45, v45, v46, v48
	v_div_fixup_f32 v2, v45, v41, v2
	v_cvt_f16_f32_e32 v2, v2
	v_cvt_f32_f16_e32 v2, v2
	v_cmp_nlg_f32_e64 vcc, |v2|, s63
	v_med3_f32 v45, v2, s64, v38
	s_nop 0
	v_cndmask_b32_e32 v2, v45, v2, vcc
	v_mov_b32_e32 v45, 0
	v_cvt_pk_fp8_f32 v45, v2, v2
	v_cvt_f32_f16_sdwa v2, v3 dst_sel:DWORD dst_unused:UNUSED_PAD src0_sel:WORD_1
	v_div_scale_f32 v3, s[66:67], v41, v41, v2
	v_rcp_f32_e32 v46, v3
	s_nop 0
	v_fma_f32 v47, -v3, v46, 1.0
	v_fmac_f32_e32 v46, v47, v46
	v_div_scale_f32 v47, vcc, v2, v41, v2
	v_mul_f32_e32 v48, v47, v46
	v_fma_f32 v49, -v3, v48, v47
	v_fmac_f32_e32 v48, v49, v46
	v_fma_f32 v3, -v3, v48, v47
	v_div_fmas_f32 v3, v3, v46, v48
	v_div_fixup_f32 v2, v3, v41, v2
	v_cvt_f16_f32_e32 v2, v2
	v_mov_b32_e32 v46, 0
	v_cvt_f32_f16_e32 v2, v2
	v_cmp_nlg_f32_e64 vcc, |v2|, s63
	v_med3_f32 v3, v2, s64, v38
	s_nop 0
	v_cndmask_b32_e32 v2, v3, v2, vcc
	v_cvt_pk_fp8_f32 v46, v2, v2
	v_cvt_f32_f16_e32 v2, v4
	v_div_scale_f32 v3, s[66:67], v41, v41, v2
	v_rcp_f32_e32 v47, v3
	s_nop 0
	v_fma_f32 v48, -v3, v47, 1.0
	v_fmac_f32_e32 v47, v48, v47
	v_div_scale_f32 v48, vcc, v2, v41, v2
	v_mul_f32_e32 v49, v48, v47
	v_fma_f32 v50, -v3, v49, v48
	v_fmac_f32_e32 v49, v50, v47
	v_fma_f32 v3, -v3, v49, v48
	v_div_fmas_f32 v3, v3, v47, v49
	v_div_fixup_f32 v2, v3, v41, v2
	v_cvt_f16_f32_e32 v2, v2
	v_cvt_f32_f16_e32 v2, v2
	v_cmp_nlg_f32_e64 vcc, |v2|, s63
	v_med3_f32 v3, v2, s64, v38
	s_nop 0
	v_cndmask_b32_e32 v2, v3, v2, vcc
	v_mov_b32_e32 v3, 0
	v_cvt_pk_fp8_f32 v3, v2, v2
	v_cvt_f32_f16_sdwa v2, v4 dst_sel:DWORD dst_unused:UNUSED_PAD src0_sel:WORD_1
	v_and_b32_e32 v3, 0xff, v3
	v_div_scale_f32 v4, s[66:67], v41, v41, v2
	v_rcp_f32_e32 v47, v4
	s_nop 0
	v_fma_f32 v48, -v4, v47, 1.0
	v_fmac_f32_e32 v47, v48, v47
	v_div_scale_f32 v48, vcc, v2, v41, v2
	v_mul_f32_e32 v49, v48, v47
	v_fma_f32 v50, -v4, v49, v48
	v_fmac_f32_e32 v49, v50, v47
	v_fma_f32 v4, -v4, v49, v48
	v_div_fmas_f32 v4, v4, v47, v49
	v_div_fixup_f32 v2, v4, v41, v2
	v_cvt_f16_f32_e32 v2, v2
	v_cvt_f32_f16_e32 v2, v2
	v_cmp_nlg_f32_e64 vcc, |v2|, s63
	v_med3_f32 v4, v2, s64, v38
	s_nop 0
	v_cndmask_b32_e32 v2, v4, v2, vcc
	v_mov_b32_e32 v4, 0
	v_cvt_pk_fp8_f32 v4, v2, v2
	v_cvt_f32_f16_e32 v2, v5
	v_lshlrev_b32_sdwa v4, v39, v4 dst_sel:DWORD dst_unused:UNUSED_PAD src0_sel:DWORD src1_sel:BYTE_0
	v_div_scale_f32 v47, s[66:67], v41, v41, v2
	v_rcp_f32_e32 v48, v47
	s_nop 0
	v_fma_f32 v49, -v47, v48, 1.0
	v_fmac_f32_e32 v48, v49, v48
	v_div_scale_f32 v49, vcc, v2, v41, v2
	v_mul_f32_e32 v50, v49, v48
	v_fma_f32 v51, -v47, v50, v49
	v_fmac_f32_e32 v50, v51, v48
	v_fma_f32 v47, -v47, v50, v49
	v_div_fmas_f32 v47, v47, v48, v50
	v_div_fixup_f32 v2, v47, v41, v2
	v_cvt_f16_f32_e32 v2, v2
	v_cvt_f32_f16_e32 v2, v2
	v_cmp_nlg_f32_e64 vcc, |v2|, s63
	v_med3_f32 v47, v2, s64, v38
	s_nop 0
	v_cndmask_b32_e32 v2, v47, v2, vcc
	v_mov_b32_e32 v47, 0
	v_cvt_pk_fp8_f32 v47, v2, v2
	v_cvt_f32_f16_sdwa v2, v5 dst_sel:DWORD dst_unused:UNUSED_PAD src0_sel:WORD_1
	v_div_scale_f32 v5, s[66:67], v41, v41, v2
	v_rcp_f32_e32 v48, v5
	s_nop 0
	v_fma_f32 v49, -v5, v48, 1.0
	v_fmac_f32_e32 v48, v49, v48
	v_div_scale_f32 v49, vcc, v2, v41, v2
	v_mul_f32_e32 v50, v49, v48
	v_fma_f32 v51, -v5, v50, v49
	v_fmac_f32_e32 v50, v51, v48
	v_fma_f32 v5, -v5, v50, v49
	v_div_fmas_f32 v5, v5, v48, v50
	v_div_fixup_f32 v2, v5, v41, v2
	v_cvt_f16_f32_e32 v2, v2
	v_cvt_f32_f16_e32 v2, v2
	v_cmp_nlg_f32_e64 vcc, |v2|, s63
	v_med3_f32 v5, v2, s64, v38
	s_nop 0
	v_cndmask_b32_e32 v2, v5, v2, vcc
	v_mov_b32_e32 v5, 0
	v_cvt_pk_fp8_f32 v5, v2, v2
	v_cmp_ge_i32_e32 vcc, v42, v15
	s_or_b64 s[54:55], vcc, s[54:55]
	v_lshlrev_b32_e32 v2, 24, v5
	v_and_b32_e32 v5, 0xff, v47
	v_lshlrev_b32_e32 v5, 16, v5
	v_or_b32_e32 v2, v2, v5
	v_or3_b32 v3, v2, v4, v3
	v_lshlrev_b32_e32 v2, 16, v45
	v_lshlrev_b32_e32 v4, 8, v44
	v_perm_b32 v2, v46, v2, s65
	v_and_b32_e32 v5, 0xff, v43
	v_and_b32_e32 v4, 0xff00, v4
	v_or3_b32 v2, v2, v4, v5
	global_store_dwordx2 v[34:35], v[2:3], off
	v_lshl_add_u64 v[34:35], v[34:35], 0, s[46:47]
	s_andn2_b64 exec, exec, s[54:55]
	s_cbranch_execnz .LBB11_14
.LBB11_15:                              ;   in Loop: Header=BB11_9 Depth=1
	s_or_b64 exec, exec, s[52:53]
	v_lshl_add_u32 v2, v15, 3, v6
	v_cmp_lt_i32_e32 vcc, v2, v8
	s_and_saveexec_b64 s[52:53], vcc
	s_cbranch_execz .LBB11_18
; %bb.16:                               ;   in Loop: Header=BB11_9 Depth=1
	v_ashrrev_i32_e32 v3, 31, v2
	v_lshl_add_u64 v[4:5], v[2:3], 1, v[32:33]
	v_lshl_add_u64 v[30:31], v[30:31], 0, v[2:3]
	v_lshl_add_u64 v[4:5], s[38:39], 0, v[4:5]
	v_lshl_add_u64 v[30:31], v[16:17], 0, v[30:31]
	s_mov_b64 s[54:55], 0
.LBB11_17:                              ;   Parent Loop BB11_9 Depth=1
                                        ; =>  This Inner Loop Header: Depth=2
	global_load_ushort v3, v[4:5], off
	v_mov_b32_e32 v15, 0
	v_add_u32_e32 v2, 32, v2
	v_lshl_add_u64 v[4:5], v[4:5], 0, 64
	s_waitcnt vmcnt(0)
	v_cvt_f32_f16_e32 v3, v3
	v_div_scale_f32 v32, s[66:67], v41, v41, v3
	v_rcp_f32_e32 v34, v32
	v_div_scale_f32 v33, vcc, v3, v41, v3
	v_fma_f32 v35, -v32, v34, 1.0
	v_fmac_f32_e32 v34, v35, v34
	v_mul_f32_e32 v35, v33, v34
	v_fma_f32 v36, -v32, v35, v33
	v_fmac_f32_e32 v35, v36, v34
	v_fma_f32 v32, -v32, v35, v33
	v_div_fmas_f32 v32, v32, v34, v35
	v_div_fixup_f32 v3, v32, v41, v3
	v_cvt_f16_f32_e32 v3, v3
	v_cvt_f32_f16_e32 v3, v3
	v_med3_f32 v32, v3, s64, v38
	v_cmp_nlg_f32_e64 vcc, |v3|, s63
	s_nop 1
	v_cndmask_b32_e32 v3, v32, v3, vcc
	v_cvt_pk_fp8_f32 v15, v3, v3
	v_cmp_ge_i32_e32 vcc, v2, v8
	s_or_b64 s[54:55], vcc, s[54:55]
	global_store_byte v[30:31], v15, off
	v_lshl_add_u64 v[30:31], v[30:31], 0, 32
	s_andn2_b64 exec, exec, s[54:55]
	s_cbranch_execnz .LBB11_17
.LBB11_18:                              ;   in Loop: Header=BB11_9 Depth=1
	s_or_b64 exec, exec, s[52:53]
                                        ; implicit-def: $vgpr41
.LBB11_19:                              ;   in Loop: Header=BB11_9 Depth=1
	s_andn2_saveexec_b64 s[50:51], s[50:51]
	s_cbranch_execz .LBB11_24
; %bb.20:                               ;   in Loop: Header=BB11_9 Depth=1
	s_and_saveexec_b64 s[52:53], s[2:3]
	s_cbranch_execz .LBB11_23
; %bb.21:                               ;   in Loop: Header=BB11_9 Depth=1
	v_lshl_add_u64 v[30:31], v[12:13], 0, v[24:25]
	s_mov_b64 s[54:55], 0
	v_mov_b64_e32 v[32:33], v[10:11]
	v_mov_b32_e32 v8, v6
.LBB11_22:                              ;   Parent Loop BB11_9 Depth=1
                                        ; =>  This Inner Loop Header: Depth=2
	global_load_dwordx4 v[2:5], v[30:31], off
	v_add_u32_e32 v8, 32, v8
	v_lshl_add_u64 v[30:31], v[30:31], 0, s[48:49]
	s_waitcnt vmcnt(0)
	v_cvt_f32_f16_e32 v15, v2
	v_cvt_f32_f16_sdwa v2, v2 dst_sel:DWORD dst_unused:UNUSED_PAD src0_sel:WORD_1
	v_div_scale_f32 v34, s[66:67], v41, v41, v15
	v_rcp_f32_e32 v35, v34
	s_nop 0
	v_fma_f32 v36, -v34, v35, 1.0
	v_fmac_f32_e32 v35, v36, v35
	v_div_scale_f32 v36, vcc, v15, v41, v15
	v_mul_f32_e32 v37, v36, v35
	v_fma_f32 v42, -v34, v37, v36
	v_fmac_f32_e32 v37, v42, v35
	v_fma_f32 v34, -v34, v37, v36
	v_div_fmas_f32 v34, v34, v35, v37
	v_div_fixup_f32 v15, v34, v41, v15
	v_cvt_f16_f32_e32 v15, v15
	v_cvt_f32_f16_e32 v15, v15
	v_cmp_nlg_f32_e64 vcc, |v15|, s63
	v_med3_f32 v34, v15, s64, v38
	s_nop 0
	v_cndmask_b32_e32 v34, v34, v15, vcc
	v_mov_b32_e32 v15, 0
	v_cvt_pk_fp8_f32 v15, v34, v34
	v_div_scale_f32 v34, s[66:67], v41, v41, v2
	v_rcp_f32_e32 v35, v34
	s_nop 0
	v_fma_f32 v36, -v34, v35, 1.0
	v_fmac_f32_e32 v35, v36, v35
	v_div_scale_f32 v36, vcc, v2, v41, v2
	v_mul_f32_e32 v37, v36, v35
	v_fma_f32 v42, -v34, v37, v36
	v_fmac_f32_e32 v37, v42, v35
	v_fma_f32 v34, -v34, v37, v36
	v_div_fmas_f32 v34, v34, v35, v37
	v_div_fixup_f32 v2, v34, v41, v2
	v_cvt_f16_f32_e32 v2, v2
	v_cvt_f32_f16_e32 v2, v2
	v_cmp_nlg_f32_e64 vcc, |v2|, s63
	v_med3_f32 v34, v2, s64, v38
	s_nop 0
	v_cndmask_b32_e32 v2, v34, v2, vcc
	v_mov_b32_e32 v34, 0
	v_cvt_pk_fp8_f32 v34, v2, v2
	v_cvt_f32_f16_e32 v2, v3
	v_div_scale_f32 v35, s[66:67], v41, v41, v2
	v_rcp_f32_e32 v36, v35
	s_nop 0
	v_fma_f32 v37, -v35, v36, 1.0
	v_fmac_f32_e32 v36, v37, v36
	v_div_scale_f32 v37, vcc, v2, v41, v2
	v_mul_f32_e32 v42, v37, v36
	v_fma_f32 v43, -v35, v42, v37
	v_fmac_f32_e32 v42, v43, v36
	v_fma_f32 v35, -v35, v42, v37
	v_div_fmas_f32 v35, v35, v36, v42
	v_div_fixup_f32 v2, v35, v41, v2
	v_cvt_f16_f32_e32 v2, v2
	v_cvt_f32_f16_e32 v2, v2
	v_cmp_nlg_f32_e64 vcc, |v2|, s63
	v_med3_f32 v35, v2, s64, v38
	s_nop 0
	v_cndmask_b32_e32 v2, v35, v2, vcc
	v_mov_b32_e32 v35, 0
	v_cvt_pk_fp8_f32 v35, v2, v2
	v_cvt_f32_f16_sdwa v2, v3 dst_sel:DWORD dst_unused:UNUSED_PAD src0_sel:WORD_1
	v_div_scale_f32 v3, s[66:67], v41, v41, v2
	v_rcp_f32_e32 v36, v3
	s_nop 0
	v_fma_f32 v37, -v3, v36, 1.0
	v_fmac_f32_e32 v36, v37, v36
	v_div_scale_f32 v37, vcc, v2, v41, v2
	v_mul_f32_e32 v42, v37, v36
	v_fma_f32 v43, -v3, v42, v37
	v_fmac_f32_e32 v42, v43, v36
	v_fma_f32 v3, -v3, v42, v37
	v_div_fmas_f32 v3, v3, v36, v42
	v_div_fixup_f32 v2, v3, v41, v2
	v_cvt_f16_f32_e32 v2, v2
	v_mov_b32_e32 v36, 0
	v_cvt_f32_f16_e32 v2, v2
	v_cmp_nlg_f32_e64 vcc, |v2|, s63
	v_med3_f32 v3, v2, s64, v38
	s_nop 0
	v_cndmask_b32_e32 v2, v3, v2, vcc
	v_cvt_pk_fp8_f32 v36, v2, v2
	v_cvt_f32_f16_e32 v2, v4
	v_div_scale_f32 v3, s[66:67], v41, v41, v2
	v_rcp_f32_e32 v37, v3
	s_nop 0
	v_fma_f32 v42, -v3, v37, 1.0
	v_fmac_f32_e32 v37, v42, v37
	v_div_scale_f32 v42, vcc, v2, v41, v2
	v_mul_f32_e32 v43, v42, v37
	v_fma_f32 v44, -v3, v43, v42
	v_fmac_f32_e32 v43, v44, v37
	v_fma_f32 v3, -v3, v43, v42
	v_div_fmas_f32 v3, v3, v37, v43
	v_div_fixup_f32 v2, v3, v41, v2
	v_cvt_f16_f32_e32 v2, v2
	v_cvt_f32_f16_e32 v2, v2
	v_cmp_nlg_f32_e64 vcc, |v2|, s63
	v_med3_f32 v3, v2, s64, v38
	s_nop 0
	v_cndmask_b32_e32 v2, v3, v2, vcc
	v_mov_b32_e32 v3, 0
	v_cvt_pk_fp8_f32 v3, v2, v2
	v_cvt_f32_f16_sdwa v2, v4 dst_sel:DWORD dst_unused:UNUSED_PAD src0_sel:WORD_1
	v_and_b32_e32 v3, 0xff, v3
	v_div_scale_f32 v4, s[66:67], v41, v41, v2
	v_rcp_f32_e32 v37, v4
	s_nop 0
	v_fma_f32 v42, -v4, v37, 1.0
	v_fmac_f32_e32 v37, v42, v37
	v_div_scale_f32 v42, vcc, v2, v41, v2
	v_mul_f32_e32 v43, v42, v37
	v_fma_f32 v44, -v4, v43, v42
	v_fmac_f32_e32 v43, v44, v37
	v_fma_f32 v4, -v4, v43, v42
	v_div_fmas_f32 v4, v4, v37, v43
	v_div_fixup_f32 v2, v4, v41, v2
	v_cvt_f16_f32_e32 v2, v2
	v_cvt_f32_f16_e32 v2, v2
	v_cmp_nlg_f32_e64 vcc, |v2|, s63
	v_med3_f32 v4, v2, s64, v38
	s_nop 0
	v_cndmask_b32_e32 v2, v4, v2, vcc
	v_mov_b32_e32 v4, 0
	v_cvt_pk_fp8_f32 v4, v2, v2
	v_cvt_f32_f16_e32 v2, v5
	v_lshlrev_b32_sdwa v4, v39, v4 dst_sel:DWORD dst_unused:UNUSED_PAD src0_sel:DWORD src1_sel:BYTE_0
	v_div_scale_f32 v37, s[66:67], v41, v41, v2
	v_rcp_f32_e32 v42, v37
	s_nop 0
	v_fma_f32 v43, -v37, v42, 1.0
	v_fmac_f32_e32 v42, v43, v42
	v_div_scale_f32 v43, vcc, v2, v41, v2
	v_mul_f32_e32 v44, v43, v42
	v_fma_f32 v45, -v37, v44, v43
	v_fmac_f32_e32 v44, v45, v42
	v_fma_f32 v37, -v37, v44, v43
	v_div_fmas_f32 v37, v37, v42, v44
	v_div_fixup_f32 v2, v37, v41, v2
	v_cvt_f16_f32_e32 v2, v2
	v_cvt_f32_f16_e32 v2, v2
	v_cmp_nlg_f32_e64 vcc, |v2|, s63
	v_med3_f32 v37, v2, s64, v38
	s_nop 0
	v_cndmask_b32_e32 v2, v37, v2, vcc
	v_mov_b32_e32 v37, 0
	v_cvt_pk_fp8_f32 v37, v2, v2
	v_cvt_f32_f16_sdwa v2, v5 dst_sel:DWORD dst_unused:UNUSED_PAD src0_sel:WORD_1
	v_div_scale_f32 v5, s[66:67], v41, v41, v2
	v_rcp_f32_e32 v42, v5
	s_nop 0
	v_fma_f32 v43, -v5, v42, 1.0
	v_fmac_f32_e32 v42, v43, v42
	v_div_scale_f32 v43, vcc, v2, v41, v2
	v_mul_f32_e32 v44, v43, v42
	v_fma_f32 v45, -v5, v44, v43
	v_fmac_f32_e32 v44, v45, v42
	v_fma_f32 v5, -v5, v44, v43
	v_div_fmas_f32 v5, v5, v42, v44
	v_div_fixup_f32 v2, v5, v41, v2
	v_cvt_f16_f32_e32 v2, v2
	v_cvt_f32_f16_e32 v2, v2
	v_cmp_nlg_f32_e64 vcc, |v2|, s63
	v_med3_f32 v5, v2, s64, v38
	s_nop 0
	v_cndmask_b32_e32 v2, v5, v2, vcc
	v_mov_b32_e32 v5, 0
	v_cvt_pk_fp8_f32 v5, v2, v2
	v_cmp_le_i32_e32 vcc, s61, v8
	s_or_b64 s[54:55], vcc, s[54:55]
	v_lshlrev_b32_e32 v2, 24, v5
	v_and_b32_e32 v5, 0xff, v37
	v_lshlrev_b32_e32 v5, 16, v5
	v_or_b32_e32 v2, v2, v5
	v_or3_b32 v3, v2, v4, v3
	v_lshlrev_b32_e32 v2, 16, v35
	v_lshlrev_b32_e32 v4, 8, v34
	v_perm_b32 v2, v36, v2, s65
	v_and_b32_e32 v5, 0xff, v15
	v_and_b32_e32 v4, 0xff00, v4
	v_or3_b32 v2, v2, v4, v5
	global_store_dwordx2 v[32:33], v[2:3], off
	v_lshl_add_u64 v[32:33], v[32:33], 0, s[46:47]
	s_andn2_b64 exec, exec, s[54:55]
	s_cbranch_execnz .LBB11_22
.LBB11_23:                              ;   in Loop: Header=BB11_9 Depth=1
	s_or_b64 exec, exec, s[52:53]
.LBB11_24:                              ;   in Loop: Header=BB11_9 Depth=1
	s_or_b64 exec, exec, s[50:51]
	v_lshl_add_u64 v[2:3], v[28:29], 1, s[30:31]
	v_and_b32_e32 v8, 15, v2
	v_cmp_ne_u64_e32 vcc, 0, v[8:9]
	s_or_b64 s[50:51], s[44:45], vcc
	s_and_saveexec_b64 s[52:53], s[50:51]
	s_xor_b64 s[50:51], exec, s[52:53]
	s_cbranch_execz .LBB11_34
; %bb.25:                               ;   in Loop: Header=BB11_9 Depth=1
	v_sub_u32_e32 v4, 0, v2
	v_bfe_u32 v4, v4, 1, 3
	v_min_i32_e32 v28, s13, v4
	v_cmp_gt_i32_e32 vcc, v28, v6
	s_and_saveexec_b64 s[52:53], vcc
	s_cbranch_execz .LBB11_27
; %bb.26:                               ;   in Loop: Header=BB11_9 Depth=1
	v_lshlrev_b32_e32 v8, 1, v6
	v_lshl_add_u64 v[2:3], v[2:3], 0, v[8:9]
	global_load_ushort v2, v[2:3], off
	s_waitcnt vmcnt(0)
	v_cvt_f32_f16_e32 v2, v2
	v_div_scale_f32 v3, s[54:55], v40, v40, v2
	v_rcp_f32_e32 v4, v3
	v_div_scale_f32 v5, vcc, v2, v40, v2
	v_fma_f32 v8, -v3, v4, 1.0
	v_fmac_f32_e32 v4, v8, v4
	v_mul_f32_e32 v8, v5, v4
	v_fma_f32 v15, -v3, v8, v5
	v_fmac_f32_e32 v8, v15, v4
	v_fma_f32 v3, -v3, v8, v5
	v_div_fmas_f32 v3, v3, v4, v8
	v_div_fixup_f32 v2, v3, v40, v2
	v_cvt_f16_f32_e32 v2, v2
	v_mov_b32_e32 v4, v9
	v_cvt_f32_f16_e32 v2, v2
	v_med3_f32 v3, v2, s64, v38
	v_cmp_nlg_f32_e64 vcc, |v2|, s63
	s_nop 1
	v_cndmask_b32_e32 v2, v3, v2, vcc
	v_cvt_pk_fp8_f32 v4, v2, v2
	v_lshl_add_u64 v[2:3], s[28:29], 0, v[26:27]
	v_lshl_add_u64 v[2:3], v[2:3], 0, v[6:7]
	global_store_byte v[2:3], v4, off
.LBB11_27:                              ;   in Loop: Header=BB11_9 Depth=1
	s_or_b64 exec, exec, s[52:53]
	v_sub_u32_e32 v8, s13, v28
	v_ashrrev_i32_e32 v2, 31, v8
	v_lshrrev_b32_e32 v2, 29, v2
	v_add_u32_e32 v2, v8, v2
	v_ashrrev_i32_e32 v29, 31, v28
	v_ashrrev_i32_e32 v15, 3, v2
	v_cmp_gt_i32_e32 vcc, v15, v6
	v_lshl_add_u64 v[24:25], v[28:29], 1, v[24:25]
	s_and_saveexec_b64 s[52:53], vcc
	s_cbranch_execz .LBB11_30
; %bb.28:                               ;   in Loop: Header=BB11_9 Depth=1
	v_lshl_add_u64 v[26:27], v[18:19], 0, v[28:29]
	v_lshl_add_u64 v[30:31], v[20:21], 0, v[24:25]
	s_mov_b64 s[54:55], 0
	v_mov_b32_e32 v32, v6
.LBB11_29:                              ;   Parent Loop BB11_9 Depth=1
                                        ; =>  This Inner Loop Header: Depth=2
	global_load_dwordx4 v[2:5], v[30:31], off
	v_add_u32_e32 v32, 32, v32
	v_lshl_add_u64 v[30:31], v[30:31], 0, s[48:49]
	s_waitcnt vmcnt(0)
	v_cvt_f32_f16_e32 v33, v2
	v_cvt_f32_f16_sdwa v2, v2 dst_sel:DWORD dst_unused:UNUSED_PAD src0_sel:WORD_1
	v_div_scale_f32 v34, s[66:67], v40, v40, v33
	v_rcp_f32_e32 v35, v34
	s_nop 0
	v_fma_f32 v36, -v34, v35, 1.0
	v_fmac_f32_e32 v35, v36, v35
	v_div_scale_f32 v36, vcc, v33, v40, v33
	v_mul_f32_e32 v37, v36, v35
	v_fma_f32 v41, -v34, v37, v36
	v_fmac_f32_e32 v37, v41, v35
	v_fma_f32 v34, -v34, v37, v36
	v_div_fmas_f32 v34, v34, v35, v37
	v_div_fixup_f32 v33, v34, v40, v33
	v_cvt_f16_f32_e32 v33, v33
	v_cvt_f32_f16_e32 v33, v33
	v_cmp_nlg_f32_e64 vcc, |v33|, s63
	v_med3_f32 v34, v33, s64, v38
	s_nop 0
	v_cndmask_b32_e32 v34, v34, v33, vcc
	v_mov_b32_e32 v33, 0
	v_cvt_pk_fp8_f32 v33, v34, v34
	v_div_scale_f32 v34, s[66:67], v40, v40, v2
	v_rcp_f32_e32 v35, v34
	s_nop 0
	v_fma_f32 v36, -v34, v35, 1.0
	v_fmac_f32_e32 v35, v36, v35
	v_div_scale_f32 v36, vcc, v2, v40, v2
	v_mul_f32_e32 v37, v36, v35
	v_fma_f32 v41, -v34, v37, v36
	v_fmac_f32_e32 v37, v41, v35
	v_fma_f32 v34, -v34, v37, v36
	v_div_fmas_f32 v34, v34, v35, v37
	v_div_fixup_f32 v2, v34, v40, v2
	v_cvt_f16_f32_e32 v2, v2
	v_cvt_f32_f16_e32 v2, v2
	v_cmp_nlg_f32_e64 vcc, |v2|, s63
	v_med3_f32 v34, v2, s64, v38
	s_nop 0
	v_cndmask_b32_e32 v2, v34, v2, vcc
	v_mov_b32_e32 v34, 0
	v_cvt_pk_fp8_f32 v34, v2, v2
	v_cvt_f32_f16_e32 v2, v3
	v_div_scale_f32 v35, s[66:67], v40, v40, v2
	v_rcp_f32_e32 v36, v35
	s_nop 0
	v_fma_f32 v37, -v35, v36, 1.0
	v_fmac_f32_e32 v36, v37, v36
	v_div_scale_f32 v37, vcc, v2, v40, v2
	v_mul_f32_e32 v41, v37, v36
	v_fma_f32 v42, -v35, v41, v37
	v_fmac_f32_e32 v41, v42, v36
	v_fma_f32 v35, -v35, v41, v37
	v_div_fmas_f32 v35, v35, v36, v41
	v_div_fixup_f32 v2, v35, v40, v2
	v_cvt_f16_f32_e32 v2, v2
	v_cvt_f32_f16_e32 v2, v2
	v_cmp_nlg_f32_e64 vcc, |v2|, s63
	v_med3_f32 v35, v2, s64, v38
	s_nop 0
	v_cndmask_b32_e32 v2, v35, v2, vcc
	v_mov_b32_e32 v35, 0
	v_cvt_pk_fp8_f32 v35, v2, v2
	v_cvt_f32_f16_sdwa v2, v3 dst_sel:DWORD dst_unused:UNUSED_PAD src0_sel:WORD_1
	v_div_scale_f32 v3, s[66:67], v40, v40, v2
	v_rcp_f32_e32 v36, v3
	s_nop 0
	v_fma_f32 v37, -v3, v36, 1.0
	v_fmac_f32_e32 v36, v37, v36
	v_div_scale_f32 v37, vcc, v2, v40, v2
	v_mul_f32_e32 v41, v37, v36
	v_fma_f32 v42, -v3, v41, v37
	v_fmac_f32_e32 v41, v42, v36
	v_fma_f32 v3, -v3, v41, v37
	v_div_fmas_f32 v3, v3, v36, v41
	v_div_fixup_f32 v2, v3, v40, v2
	v_cvt_f16_f32_e32 v2, v2
	v_mov_b32_e32 v36, 0
	v_cvt_f32_f16_e32 v2, v2
	v_cmp_nlg_f32_e64 vcc, |v2|, s63
	v_med3_f32 v3, v2, s64, v38
	s_nop 0
	v_cndmask_b32_e32 v2, v3, v2, vcc
	v_cvt_pk_fp8_f32 v36, v2, v2
	v_cvt_f32_f16_e32 v2, v4
	v_div_scale_f32 v3, s[66:67], v40, v40, v2
	v_rcp_f32_e32 v37, v3
	s_nop 0
	v_fma_f32 v41, -v3, v37, 1.0
	v_fmac_f32_e32 v37, v41, v37
	v_div_scale_f32 v41, vcc, v2, v40, v2
	v_mul_f32_e32 v42, v41, v37
	v_fma_f32 v43, -v3, v42, v41
	v_fmac_f32_e32 v42, v43, v37
	v_fma_f32 v3, -v3, v42, v41
	v_div_fmas_f32 v3, v3, v37, v42
	v_div_fixup_f32 v2, v3, v40, v2
	v_cvt_f16_f32_e32 v2, v2
	v_cvt_f32_f16_e32 v2, v2
	v_cmp_nlg_f32_e64 vcc, |v2|, s63
	v_med3_f32 v3, v2, s64, v38
	s_nop 0
	v_cndmask_b32_e32 v2, v3, v2, vcc
	v_mov_b32_e32 v3, 0
	v_cvt_pk_fp8_f32 v3, v2, v2
	v_cvt_f32_f16_sdwa v2, v4 dst_sel:DWORD dst_unused:UNUSED_PAD src0_sel:WORD_1
	v_and_b32_e32 v3, 0xff, v3
	v_div_scale_f32 v4, s[66:67], v40, v40, v2
	v_rcp_f32_e32 v37, v4
	s_nop 0
	v_fma_f32 v41, -v4, v37, 1.0
	v_fmac_f32_e32 v37, v41, v37
	v_div_scale_f32 v41, vcc, v2, v40, v2
	v_mul_f32_e32 v42, v41, v37
	v_fma_f32 v43, -v4, v42, v41
	v_fmac_f32_e32 v42, v43, v37
	v_fma_f32 v4, -v4, v42, v41
	v_div_fmas_f32 v4, v4, v37, v42
	v_div_fixup_f32 v2, v4, v40, v2
	v_cvt_f16_f32_e32 v2, v2
	v_cvt_f32_f16_e32 v2, v2
	v_cmp_nlg_f32_e64 vcc, |v2|, s63
	v_med3_f32 v4, v2, s64, v38
	s_nop 0
	v_cndmask_b32_e32 v2, v4, v2, vcc
	v_mov_b32_e32 v4, 0
	v_cvt_pk_fp8_f32 v4, v2, v2
	v_cvt_f32_f16_e32 v2, v5
	v_lshlrev_b32_sdwa v4, v39, v4 dst_sel:DWORD dst_unused:UNUSED_PAD src0_sel:DWORD src1_sel:BYTE_0
	v_div_scale_f32 v37, s[66:67], v40, v40, v2
	v_rcp_f32_e32 v41, v37
	s_nop 0
	v_fma_f32 v42, -v37, v41, 1.0
	v_fmac_f32_e32 v41, v42, v41
	v_div_scale_f32 v42, vcc, v2, v40, v2
	v_mul_f32_e32 v43, v42, v41
	v_fma_f32 v44, -v37, v43, v42
	v_fmac_f32_e32 v43, v44, v41
	v_fma_f32 v37, -v37, v43, v42
	v_div_fmas_f32 v37, v37, v41, v43
	v_div_fixup_f32 v2, v37, v40, v2
	v_cvt_f16_f32_e32 v2, v2
	v_cvt_f32_f16_e32 v2, v2
	v_cmp_nlg_f32_e64 vcc, |v2|, s63
	v_med3_f32 v37, v2, s64, v38
	s_nop 0
	v_cndmask_b32_e32 v2, v37, v2, vcc
	v_mov_b32_e32 v37, 0
	v_cvt_pk_fp8_f32 v37, v2, v2
	v_cvt_f32_f16_sdwa v2, v5 dst_sel:DWORD dst_unused:UNUSED_PAD src0_sel:WORD_1
	v_div_scale_f32 v5, s[66:67], v40, v40, v2
	v_rcp_f32_e32 v41, v5
	s_nop 0
	v_fma_f32 v42, -v5, v41, 1.0
	v_fmac_f32_e32 v41, v42, v41
	v_div_scale_f32 v42, vcc, v2, v40, v2
	v_mul_f32_e32 v43, v42, v41
	v_fma_f32 v44, -v5, v43, v42
	v_fmac_f32_e32 v43, v44, v41
	v_fma_f32 v5, -v5, v43, v42
	v_div_fmas_f32 v5, v5, v41, v43
	v_div_fixup_f32 v2, v5, v40, v2
	v_cvt_f16_f32_e32 v2, v2
	v_cvt_f32_f16_e32 v2, v2
	v_cmp_nlg_f32_e64 vcc, |v2|, s63
	v_med3_f32 v5, v2, s64, v38
	s_nop 0
	v_cndmask_b32_e32 v2, v5, v2, vcc
	v_mov_b32_e32 v5, 0
	v_cvt_pk_fp8_f32 v5, v2, v2
	v_cmp_ge_i32_e32 vcc, v32, v15
	s_or_b64 s[54:55], vcc, s[54:55]
	v_lshlrev_b32_e32 v2, 24, v5
	v_and_b32_e32 v5, 0xff, v37
	v_lshlrev_b32_e32 v5, 16, v5
	v_or_b32_e32 v2, v2, v5
	v_or3_b32 v3, v2, v4, v3
	v_lshlrev_b32_e32 v2, 16, v35
	v_lshlrev_b32_e32 v4, 8, v34
	v_perm_b32 v2, v36, v2, s65
	v_and_b32_e32 v5, 0xff, v33
	v_and_b32_e32 v4, 0xff00, v4
	v_or3_b32 v2, v2, v4, v5
	global_store_dwordx2 v[26:27], v[2:3], off
	v_lshl_add_u64 v[26:27], v[26:27], 0, s[46:47]
	s_andn2_b64 exec, exec, s[54:55]
	s_cbranch_execnz .LBB11_29
.LBB11_30:                              ;   in Loop: Header=BB11_9 Depth=1
	s_or_b64 exec, exec, s[52:53]
	v_lshl_add_u32 v2, v15, 3, v6
	v_cmp_lt_i32_e32 vcc, v2, v8
	s_and_saveexec_b64 s[52:53], vcc
	s_cbranch_execz .LBB11_33
; %bb.31:                               ;   in Loop: Header=BB11_9 Depth=1
	v_ashrrev_i32_e32 v3, 31, v2
	v_lshl_add_u64 v[4:5], v[2:3], 1, v[24:25]
	v_lshl_add_u64 v[24:25], v[28:29], 0, v[2:3]
	;; [unrolled: 1-line block ×4, first 2 shown]
	s_mov_b64 s[54:55], 0
.LBB11_32:                              ;   Parent Loop BB11_9 Depth=1
                                        ; =>  This Inner Loop Header: Depth=2
	global_load_ushort v3, v[4:5], off
	v_mov_b32_e32 v15, 0
	v_add_u32_e32 v2, 32, v2
	v_lshl_add_u64 v[4:5], v[4:5], 0, 64
	s_waitcnt vmcnt(0)
	v_cvt_f32_f16_e32 v3, v3
	v_div_scale_f32 v26, s[66:67], v40, v40, v3
	v_rcp_f32_e32 v28, v26
	v_div_scale_f32 v27, vcc, v3, v40, v3
	v_fma_f32 v29, -v26, v28, 1.0
	v_fmac_f32_e32 v28, v29, v28
	v_mul_f32_e32 v29, v27, v28
	v_fma_f32 v30, -v26, v29, v27
	v_fmac_f32_e32 v29, v30, v28
	v_fma_f32 v26, -v26, v29, v27
	v_div_fmas_f32 v26, v26, v28, v29
	v_div_fixup_f32 v3, v26, v40, v3
	v_cvt_f16_f32_e32 v3, v3
	v_cvt_f32_f16_e32 v3, v3
	v_med3_f32 v26, v3, s64, v38
	v_cmp_nlg_f32_e64 vcc, |v3|, s63
	s_nop 1
	v_cndmask_b32_e32 v3, v26, v3, vcc
	v_cvt_pk_fp8_f32 v15, v3, v3
	v_cmp_ge_i32_e32 vcc, v2, v8
	s_or_b64 s[54:55], vcc, s[54:55]
	global_store_byte v[24:25], v15, off
	v_lshl_add_u64 v[24:25], v[24:25], 0, 32
	s_andn2_b64 exec, exec, s[54:55]
	s_cbranch_execnz .LBB11_32
.LBB11_33:                              ;   in Loop: Header=BB11_9 Depth=1
	s_or_b64 exec, exec, s[52:53]
                                        ; implicit-def: $vgpr40
                                        ; implicit-def: $vgpr24_vgpr25
.LBB11_34:                              ;   in Loop: Header=BB11_9 Depth=1
	s_andn2_saveexec_b64 s[50:51], s[50:51]
	s_cbranch_execz .LBB11_8
; %bb.35:                               ;   in Loop: Header=BB11_9 Depth=1
	s_and_saveexec_b64 s[52:53], s[2:3]
	s_cbranch_execz .LBB11_7
; %bb.36:                               ;   in Loop: Header=BB11_9 Depth=1
	v_lshl_add_u64 v[24:25], v[20:21], 0, v[24:25]
	s_mov_b64 s[54:55], 0
	v_mov_b64_e32 v[26:27], v[18:19]
	v_mov_b32_e32 v8, v6
.LBB11_37:                              ;   Parent Loop BB11_9 Depth=1
                                        ; =>  This Inner Loop Header: Depth=2
	global_load_dwordx4 v[2:5], v[24:25], off
	v_add_u32_e32 v8, 32, v8
	v_lshl_add_u64 v[24:25], v[24:25], 0, s[48:49]
	s_waitcnt vmcnt(0)
	v_cvt_f32_f16_e32 v15, v2
	v_cvt_f32_f16_sdwa v2, v2 dst_sel:DWORD dst_unused:UNUSED_PAD src0_sel:WORD_1
	v_div_scale_f32 v28, s[66:67], v40, v40, v15
	v_rcp_f32_e32 v29, v28
	s_nop 0
	v_fma_f32 v30, -v28, v29, 1.0
	v_fmac_f32_e32 v29, v30, v29
	v_div_scale_f32 v30, vcc, v15, v40, v15
	v_mul_f32_e32 v31, v30, v29
	v_fma_f32 v32, -v28, v31, v30
	v_fmac_f32_e32 v31, v32, v29
	v_fma_f32 v28, -v28, v31, v30
	v_div_fmas_f32 v28, v28, v29, v31
	v_div_fixup_f32 v15, v28, v40, v15
	v_cvt_f16_f32_e32 v15, v15
	v_cvt_f32_f16_e32 v15, v15
	v_cmp_nlg_f32_e64 vcc, |v15|, s63
	v_med3_f32 v28, v15, s64, v38
	s_nop 0
	v_cndmask_b32_e32 v28, v28, v15, vcc
	v_mov_b32_e32 v15, 0
	v_cvt_pk_fp8_f32 v15, v28, v28
	v_div_scale_f32 v28, s[66:67], v40, v40, v2
	v_rcp_f32_e32 v29, v28
	s_nop 0
	v_fma_f32 v30, -v28, v29, 1.0
	v_fmac_f32_e32 v29, v30, v29
	v_div_scale_f32 v30, vcc, v2, v40, v2
	v_mul_f32_e32 v31, v30, v29
	v_fma_f32 v32, -v28, v31, v30
	v_fmac_f32_e32 v31, v32, v29
	v_fma_f32 v28, -v28, v31, v30
	v_div_fmas_f32 v28, v28, v29, v31
	v_div_fixup_f32 v2, v28, v40, v2
	v_cvt_f16_f32_e32 v2, v2
	v_cvt_f32_f16_e32 v2, v2
	v_cmp_nlg_f32_e64 vcc, |v2|, s63
	v_med3_f32 v28, v2, s64, v38
	s_nop 0
	v_cndmask_b32_e32 v2, v28, v2, vcc
	v_mov_b32_e32 v28, 0
	v_cvt_pk_fp8_f32 v28, v2, v2
	v_cvt_f32_f16_e32 v2, v3
	v_div_scale_f32 v29, s[66:67], v40, v40, v2
	v_rcp_f32_e32 v30, v29
	s_nop 0
	v_fma_f32 v31, -v29, v30, 1.0
	v_fmac_f32_e32 v30, v31, v30
	v_div_scale_f32 v31, vcc, v2, v40, v2
	v_mul_f32_e32 v32, v31, v30
	v_fma_f32 v33, -v29, v32, v31
	v_fmac_f32_e32 v32, v33, v30
	v_fma_f32 v29, -v29, v32, v31
	v_div_fmas_f32 v29, v29, v30, v32
	v_div_fixup_f32 v2, v29, v40, v2
	v_cvt_f16_f32_e32 v2, v2
	v_cvt_f32_f16_e32 v2, v2
	v_cmp_nlg_f32_e64 vcc, |v2|, s63
	v_med3_f32 v29, v2, s64, v38
	s_nop 0
	v_cndmask_b32_e32 v2, v29, v2, vcc
	v_mov_b32_e32 v29, 0
	v_cvt_pk_fp8_f32 v29, v2, v2
	v_cvt_f32_f16_sdwa v2, v3 dst_sel:DWORD dst_unused:UNUSED_PAD src0_sel:WORD_1
	v_div_scale_f32 v3, s[66:67], v40, v40, v2
	v_rcp_f32_e32 v30, v3
	s_nop 0
	v_fma_f32 v31, -v3, v30, 1.0
	v_fmac_f32_e32 v30, v31, v30
	v_div_scale_f32 v31, vcc, v2, v40, v2
	v_mul_f32_e32 v32, v31, v30
	v_fma_f32 v33, -v3, v32, v31
	v_fmac_f32_e32 v32, v33, v30
	v_fma_f32 v3, -v3, v32, v31
	v_div_fmas_f32 v3, v3, v30, v32
	v_div_fixup_f32 v2, v3, v40, v2
	v_cvt_f16_f32_e32 v2, v2
	v_mov_b32_e32 v30, 0
	v_cvt_f32_f16_e32 v2, v2
	v_cmp_nlg_f32_e64 vcc, |v2|, s63
	v_med3_f32 v3, v2, s64, v38
	s_nop 0
	v_cndmask_b32_e32 v2, v3, v2, vcc
	v_cvt_pk_fp8_f32 v30, v2, v2
	v_cvt_f32_f16_e32 v2, v4
	v_div_scale_f32 v3, s[66:67], v40, v40, v2
	v_rcp_f32_e32 v31, v3
	s_nop 0
	v_fma_f32 v32, -v3, v31, 1.0
	v_fmac_f32_e32 v31, v32, v31
	v_div_scale_f32 v32, vcc, v2, v40, v2
	v_mul_f32_e32 v33, v32, v31
	v_fma_f32 v34, -v3, v33, v32
	v_fmac_f32_e32 v33, v34, v31
	v_fma_f32 v3, -v3, v33, v32
	v_div_fmas_f32 v3, v3, v31, v33
	v_div_fixup_f32 v2, v3, v40, v2
	v_cvt_f16_f32_e32 v2, v2
	v_cvt_f32_f16_e32 v2, v2
	v_cmp_nlg_f32_e64 vcc, |v2|, s63
	v_med3_f32 v3, v2, s64, v38
	s_nop 0
	v_cndmask_b32_e32 v2, v3, v2, vcc
	v_mov_b32_e32 v3, 0
	v_cvt_pk_fp8_f32 v3, v2, v2
	v_cvt_f32_f16_sdwa v2, v4 dst_sel:DWORD dst_unused:UNUSED_PAD src0_sel:WORD_1
	v_and_b32_e32 v3, 0xff, v3
	v_div_scale_f32 v4, s[66:67], v40, v40, v2
	v_rcp_f32_e32 v31, v4
	s_nop 0
	v_fma_f32 v32, -v4, v31, 1.0
	v_fmac_f32_e32 v31, v32, v31
	v_div_scale_f32 v32, vcc, v2, v40, v2
	v_mul_f32_e32 v33, v32, v31
	v_fma_f32 v34, -v4, v33, v32
	v_fmac_f32_e32 v33, v34, v31
	v_fma_f32 v4, -v4, v33, v32
	v_div_fmas_f32 v4, v4, v31, v33
	v_div_fixup_f32 v2, v4, v40, v2
	v_cvt_f16_f32_e32 v2, v2
	v_cvt_f32_f16_e32 v2, v2
	v_cmp_nlg_f32_e64 vcc, |v2|, s63
	v_med3_f32 v4, v2, s64, v38
	s_nop 0
	v_cndmask_b32_e32 v2, v4, v2, vcc
	v_mov_b32_e32 v4, 0
	v_cvt_pk_fp8_f32 v4, v2, v2
	v_cvt_f32_f16_e32 v2, v5
	v_lshlrev_b32_sdwa v4, v39, v4 dst_sel:DWORD dst_unused:UNUSED_PAD src0_sel:DWORD src1_sel:BYTE_0
	v_div_scale_f32 v31, s[66:67], v40, v40, v2
	v_rcp_f32_e32 v32, v31
	s_nop 0
	v_fma_f32 v33, -v31, v32, 1.0
	v_fmac_f32_e32 v32, v33, v32
	v_div_scale_f32 v33, vcc, v2, v40, v2
	v_mul_f32_e32 v34, v33, v32
	v_fma_f32 v35, -v31, v34, v33
	v_fmac_f32_e32 v34, v35, v32
	v_fma_f32 v31, -v31, v34, v33
	v_div_fmas_f32 v31, v31, v32, v34
	v_div_fixup_f32 v2, v31, v40, v2
	v_cvt_f16_f32_e32 v2, v2
	v_cvt_f32_f16_e32 v2, v2
	v_cmp_nlg_f32_e64 vcc, |v2|, s63
	v_med3_f32 v31, v2, s64, v38
	s_nop 0
	v_cndmask_b32_e32 v2, v31, v2, vcc
	v_mov_b32_e32 v31, 0
	v_cvt_pk_fp8_f32 v31, v2, v2
	v_cvt_f32_f16_sdwa v2, v5 dst_sel:DWORD dst_unused:UNUSED_PAD src0_sel:WORD_1
	v_div_scale_f32 v5, s[66:67], v40, v40, v2
	v_rcp_f32_e32 v32, v5
	s_nop 0
	v_fma_f32 v33, -v5, v32, 1.0
	v_fmac_f32_e32 v32, v33, v32
	v_div_scale_f32 v33, vcc, v2, v40, v2
	v_mul_f32_e32 v34, v33, v32
	v_fma_f32 v35, -v5, v34, v33
	v_fmac_f32_e32 v34, v35, v32
	v_fma_f32 v5, -v5, v34, v33
	v_div_fmas_f32 v5, v5, v32, v34
	v_div_fixup_f32 v2, v5, v40, v2
	v_cvt_f16_f32_e32 v2, v2
	v_cvt_f32_f16_e32 v2, v2
	v_cmp_nlg_f32_e64 vcc, |v2|, s63
	v_med3_f32 v5, v2, s64, v38
	s_nop 0
	v_cndmask_b32_e32 v2, v5, v2, vcc
	v_mov_b32_e32 v5, 0
	v_cvt_pk_fp8_f32 v5, v2, v2
	v_cmp_le_i32_e32 vcc, s61, v8
	s_or_b64 s[54:55], vcc, s[54:55]
	v_lshlrev_b32_e32 v2, 24, v5
	v_and_b32_e32 v5, 0xff, v31
	v_lshlrev_b32_e32 v5, 16, v5
	v_or_b32_e32 v2, v2, v5
	v_or3_b32 v3, v2, v4, v3
	v_lshlrev_b32_e32 v2, 16, v29
	v_lshlrev_b32_e32 v4, 8, v28
	v_perm_b32 v2, v30, v2, s65
	v_and_b32_e32 v5, 0xff, v15
	v_and_b32_e32 v4, 0xff00, v4
	v_or3_b32 v2, v2, v4, v5
	global_store_dwordx2 v[26:27], v[2:3], off
	v_lshl_add_u64 v[26:27], v[26:27], 0, s[46:47]
	s_andn2_b64 exec, exec, s[54:55]
	s_cbranch_execnz .LBB11_37
	s_branch .LBB11_7
.LBB11_38:
	s_or_b64 exec, exec, s[6:7]
	s_mov_b64 s[2:3], 0
.LBB11_39:
	s_andn2_b64 vcc, exec, s[2:3]
	s_cbranch_vccnz .LBB11_71
; %bb.40:
	s_load_dword s1, s[0:1], 0x84
	s_nop 0
	s_load_dword s31, s[24:25], 0x0
	s_load_dword s46, s[26:27], 0x0
	s_and_b32 s0, s10, 15
	s_mul_i32 s47, s13, s12
	s_waitcnt lgkmcnt(0)
	s_and_b32 s24, s1, 0xffff
	s_mov_b32 s1, 0
	s_cmp_lg_u64 s[0:1], 0
	s_cselect_b64 s[0:1], -1, 0
	s_and_b32 s2, s47, 7
	s_cmp_eq_u32 s2, 0
	s_cselect_b64 s[26:27], -1, 0
	s_cmp_lg_u32 s2, 0
	s_cselect_b64 s[2:3], -1, 0
	s_or_b64 s[2:3], s[0:1], s[2:3]
	s_mov_b64 s[0:1], -1
	s_and_b64 vcc, exec, s[2:3]
	s_cbranch_vccz .LBB11_51
; %bb.41:
	s_sub_i32 s0, 0, s10
	s_bfe_u32 s0, s0, 0x30001
	s_min_i32 s36, s0, s47
	v_cmp_gt_i32_e32 vcc, s36, v0
	s_and_saveexec_b64 s[0:1], vcc
	s_cbranch_execz .LBB11_44
; %bb.42:
	v_mov_b32_e32 v1, 0
	s_add_u32 s2, s16, s34
	s_mov_b32 s25, 0
	v_lshlrev_b32_e32 v2, 1, v0
	v_mov_b32_e32 v3, v1
	s_addc_u32 s3, s17, s35
	v_lshl_add_u64 v[2:3], s[2:3], 0, v[2:3]
	s_lshl_b32 s2, s24, 1
	s_mov_b32 s3, s25
	s_mov_b64 s[6:7], 0
	s_mov_b32 s8, 0x7f800000
	s_mov_b32 s9, 0x43700000
	v_mov_b32_e32 v6, 0xc3700000
	v_mov_b64_e32 v[4:5], v[0:1]
.LBB11_43:                              ; =>This Inner Loop Header: Depth=1
	global_load_ushort v1, v[2:3], off
	v_lshl_add_u64 v[2:3], v[2:3], 0, s[2:3]
	s_waitcnt vmcnt(0)
	v_cvt_f32_f16_e32 v1, v1
	v_div_scale_f32 v7, s[10:11], s31, s31, v1
	v_rcp_f32_e32 v8, v7
	v_div_scale_f32 v9, vcc, v1, s31, v1
	v_fma_f32 v10, -v7, v8, 1.0
	v_fmac_f32_e32 v8, v10, v8
	v_mul_f32_e32 v10, v9, v8
	v_fma_f32 v11, -v7, v10, v9
	v_fmac_f32_e32 v10, v11, v8
	v_fma_f32 v7, -v7, v10, v9
	v_div_fmas_f32 v7, v7, v8, v10
	v_div_fixup_f32 v1, v7, s31, v1
	v_cvt_f16_f32_e32 v1, v1
	v_mov_b32_e32 v7, 0
	v_lshl_add_u64 v[8:9], s[4:5], 0, v[4:5]
	v_lshl_add_u64 v[4:5], v[4:5], 0, s[24:25]
	v_cvt_f32_f16_e32 v1, v1
	v_med3_f32 v10, v1, s9, v6
	v_cmp_nlg_f32_e64 vcc, |v1|, s8
	s_nop 1
	v_cndmask_b32_e32 v1, v10, v1, vcc
	v_cvt_pk_fp8_f32 v7, v1, v1
	v_cmp_le_i32_e32 vcc, s36, v4
	s_or_b64 s[6:7], vcc, s[6:7]
	global_store_byte v[8:9], v7, off
	s_andn2_b64 exec, exec, s[6:7]
	s_cbranch_execnz .LBB11_43
.LBB11_44:
	s_or_b64 exec, exec, s[0:1]
	s_sub_i32 s25, s47, s36
	s_ashr_i32 s0, s25, 31
	s_lshr_b32 s0, s0, 29
	s_add_i32 s0, s25, s0
	s_ashr_i32 s48, s0, 3
	s_ashr_i32 s37, s36, 31
	v_cmp_gt_i32_e32 vcc, s48, v0
	s_and_saveexec_b64 s[38:39], vcc
	s_cbranch_execz .LBB11_47
; %bb.45:
	s_add_u32 s0, s36, s56
	s_addc_u32 s1, s37, s33
	s_add_u32 s0, s0, s58
	s_addc_u32 s1, s1, s57
	s_add_u32 s0, s20, s0
	v_lshlrev_b32_e32 v2, 3, v0
	v_mov_b32_e32 v3, 0
	s_addc_u32 s1, s21, s1
	v_lshl_add_u64 v[6:7], s[0:1], 0, v[2:3]
	s_lshl_b32 s40, s24, 3
	s_lshl_b64 s[0:1], s[36:37], 1
	s_add_u32 s0, s16, s0
	s_addc_u32 s1, s17, s1
	s_add_u32 s0, s0, s34
	s_mov_b32 s41, 0
	v_lshlrev_b32_e32 v2, 4, v0
	s_addc_u32 s1, s1, s35
	v_lshl_add_u64 v[8:9], s[0:1], 0, v[2:3]
	s_lshl_b32 s42, s24, 4
	s_mov_b32 s43, s41
	s_mov_b64 s[44:45], 0
	s_mov_b32 s49, 0x7f800000
	s_mov_b32 s50, 0x43700000
	v_mov_b32_e32 v1, 0xc3700000
	s_mov_b32 s51, 0x4020c0c
	v_mov_b32_e32 v10, 8
	v_mov_b32_e32 v11, v0
.LBB11_46:                              ; =>This Inner Loop Header: Depth=1
	global_load_dwordx4 v[2:5], v[8:9], off
	v_add_u32_e32 v11, s24, v11
	v_cmp_le_i32_e32 vcc, s48, v11
	s_or_b64 s[44:45], vcc, s[44:45]
	v_mov_b32_e32 v12, 0
	v_mov_b32_e32 v13, 0
	;; [unrolled: 1-line block ×8, first 2 shown]
	v_lshl_add_u64 v[8:9], v[8:9], 0, s[42:43]
	s_waitcnt vmcnt(0)
	v_cvt_f32_f16_e32 v20, v2
	v_cvt_f32_f16_sdwa v2, v2 dst_sel:DWORD dst_unused:UNUSED_PAD src0_sel:WORD_1
	v_cvt_f32_f16_e32 v21, v3
	v_cvt_f32_f16_sdwa v3, v3 dst_sel:DWORD dst_unused:UNUSED_PAD src0_sel:WORD_1
	v_cvt_f32_f16_e32 v22, v4
	v_div_scale_f32 v24, s[0:1], s31, s31, v20
	v_cvt_f32_f16_sdwa v4, v4 dst_sel:DWORD dst_unused:UNUSED_PAD src0_sel:WORD_1
	v_div_scale_f32 v26, s[0:1], s31, s31, v2
	v_rcp_f32_e32 v40, v24
	v_cvt_f32_f16_e32 v23, v5
	v_div_scale_f32 v28, s[2:3], s31, s31, v21
	v_rcp_f32_e32 v41, v26
	v_cvt_f32_f16_sdwa v5, v5 dst_sel:DWORD dst_unused:UNUSED_PAD src0_sel:WORD_1
	v_div_scale_f32 v30, s[4:5], s31, s31, v3
	v_rcp_f32_e32 v42, v28
	v_div_scale_f32 v32, s[6:7], s31, s31, v22
	v_rcp_f32_e32 v43, v30
	;; [unrolled: 2-line block ×3, first 2 shown]
	v_fma_f32 v48, -v24, v40, 1.0
	v_div_scale_f32 v25, vcc, v20, s31, v20
	v_div_scale_f32 v36, s[10:11], s31, s31, v23
	v_rcp_f32_e32 v45, v34
	v_fma_f32 v49, -v26, v41, 1.0
	v_fmac_f32_e32 v40, v48, v40
	v_div_scale_f32 v27, s[0:1], v2, s31, v2
	v_div_scale_f32 v38, s[12:13], s31, s31, v5
	v_rcp_f32_e32 v46, v36
	v_fma_f32 v50, -v28, v42, 1.0
	v_fmac_f32_e32 v41, v49, v41
	v_mul_f32_e32 v48, v25, v40
	v_div_scale_f32 v29, s[2:3], v21, s31, v21
	v_rcp_f32_e32 v47, v38
	v_fma_f32 v51, -v30, v43, 1.0
	v_fmac_f32_e32 v42, v50, v42
	v_mul_f32_e32 v49, v27, v41
	v_fma_f32 v56, -v24, v48, v25
	v_div_scale_f32 v31, s[4:5], v3, s31, v3
	v_fma_f32 v52, -v32, v44, 1.0
	v_fmac_f32_e32 v43, v51, v43
	v_mul_f32_e32 v50, v29, v42
	v_fma_f32 v57, -v26, v49, v27
	v_fmac_f32_e32 v48, v56, v40
	v_div_scale_f32 v33, s[6:7], v22, s31, v22
	v_fma_f32 v53, -v34, v45, 1.0
	v_fmac_f32_e32 v44, v52, v44
	v_mul_f32_e32 v51, v31, v43
	v_fma_f32 v58, -v28, v50, v29
	v_fmac_f32_e32 v49, v57, v41
	v_fma_f32 v24, -v24, v48, v25
	v_div_scale_f32 v35, s[8:9], v4, s31, v4
	v_fma_f32 v54, -v36, v46, 1.0
	v_fmac_f32_e32 v45, v53, v45
	v_mul_f32_e32 v52, v33, v44
	v_fma_f32 v59, -v30, v51, v31
	v_fmac_f32_e32 v50, v58, v42
	v_fma_f32 v25, -v26, v49, v27
	v_div_fmas_f32 v24, v24, v40, v48
	s_mov_b64 vcc, s[0:1]
	v_div_scale_f32 v37, s[10:11], v23, s31, v23
	v_fma_f32 v55, -v38, v47, 1.0
	v_fmac_f32_e32 v46, v54, v46
	v_mul_f32_e32 v53, v35, v45
	v_fma_f32 v60, -v32, v52, v33
	v_fmac_f32_e32 v51, v59, v43
	v_fma_f32 v26, -v28, v50, v29
	v_div_fixup_f32 v20, v24, s31, v20
	v_div_fmas_f32 v24, v25, v41, v49
	s_mov_b64 vcc, s[2:3]
	v_div_scale_f32 v39, s[12:13], v5, s31, v5
	v_fmac_f32_e32 v47, v55, v47
	v_mul_f32_e32 v54, v37, v46
	v_fma_f32 v56, -v34, v53, v35
	v_fmac_f32_e32 v52, v60, v44
	v_fma_f32 v27, -v30, v51, v31
	v_cvt_f16_f32_e32 v20, v20
	v_div_fixup_f32 v2, v24, s31, v2
	v_div_fmas_f32 v24, v26, v42, v50
	s_mov_b64 vcc, s[4:5]
	v_mul_f32_e32 v55, v39, v47
	v_fma_f32 v57, -v36, v54, v37
	v_fmac_f32_e32 v53, v56, v45
	v_fma_f32 v28, -v32, v52, v33
	v_cvt_f16_f32_e32 v2, v2
	v_div_fixup_f32 v21, v24, s31, v21
	v_div_fmas_f32 v24, v27, v43, v51
	s_mov_b64 vcc, s[6:7]
	v_fma_f32 v58, -v38, v55, v39
	v_fmac_f32_e32 v54, v57, v46
	v_fma_f32 v29, -v34, v53, v35
	v_cvt_f16_f32_e32 v21, v21
	v_div_fixup_f32 v3, v24, s31, v3
	v_div_fmas_f32 v24, v28, v44, v52
	s_mov_b64 vcc, s[8:9]
	v_fmac_f32_e32 v55, v58, v47
	v_fma_f32 v30, -v36, v54, v37
	v_cvt_f16_f32_e32 v3, v3
	v_div_fixup_f32 v22, v24, s31, v22
	v_div_fmas_f32 v24, v29, v45, v53
	s_mov_b64 vcc, s[10:11]
	v_fma_f32 v31, -v38, v55, v39
	v_cvt_f32_f16_e32 v20, v20
	v_cvt_f16_f32_e32 v22, v22
	v_div_fixup_f32 v4, v24, s31, v4
	v_div_fmas_f32 v24, v30, v46, v54
	s_mov_b64 vcc, s[12:13]
	v_cvt_f32_f16_e32 v2, v2
	v_cvt_f16_f32_e32 v4, v4
	v_div_fixup_f32 v23, v24, s31, v23
	v_div_fmas_f32 v24, v31, v47, v55
	v_cvt_f32_f16_e32 v21, v21
	v_cvt_f16_f32_e32 v23, v23
	v_div_fixup_f32 v5, v24, s31, v5
	v_cvt_f32_f16_e32 v3, v3
	v_cvt_f16_f32_e32 v5, v5
	v_med3_f32 v24, v20, s50, v1
	v_cvt_f32_f16_e32 v22, v22
	v_cmp_nlg_f32_e64 vcc, |v20|, s49
	v_cvt_f32_f16_e32 v4, v4
	v_cvt_f32_f16_e32 v23, v23
	v_cndmask_b32_e32 v20, v24, v20, vcc
	v_med3_f32 v24, v2, s50, v1
	v_cmp_nlg_f32_e64 vcc, |v2|, s49
	v_cvt_pk_fp8_f32 v12, v20, v20
	v_med3_f32 v20, v21, s50, v1
	v_cndmask_b32_e32 v2, v24, v2, vcc
	v_cmp_nlg_f32_e64 vcc, |v21|, s49
	v_cvt_pk_fp8_f32 v13, v2, v2
	v_cvt_f32_f16_e32 v5, v5
	v_cndmask_b32_e32 v2, v20, v21, vcc
	v_med3_f32 v20, v3, s50, v1
	v_cmp_nlg_f32_e64 vcc, |v3|, s49
	v_cvt_pk_fp8_f32 v14, v2, v2
	s_nop 0
	v_cndmask_b32_e32 v2, v20, v3, vcc
	v_med3_f32 v3, v22, s50, v1
	v_cmp_nlg_f32_e64 vcc, |v22|, s49
	v_cvt_pk_fp8_f32 v15, v2, v2
	s_nop 0
	;; [unrolled: 5-line block ×3, first 2 shown]
	v_cndmask_b32_e32 v2, v3, v4, vcc
	v_med3_f32 v3, v23, s50, v1
	v_cmp_nlg_f32_e64 vcc, |v23|, s49
	v_cvt_pk_fp8_f32 v17, v2, v2
	v_and_b32_e32 v4, 0xff, v12
	v_cndmask_b32_e32 v2, v3, v23, vcc
	v_med3_f32 v3, v5, s50, v1
	v_cmp_nlg_f32_e64 vcc, |v5|, s49
	v_cvt_pk_fp8_f32 v18, v2, v2
	v_lshlrev_b32_e32 v12, 8, v13
	v_cndmask_b32_e32 v2, v3, v5, vcc
	v_cvt_pk_fp8_f32 v19, v2, v2
	v_lshlrev_b32_e32 v3, 16, v14
	v_and_b32_e32 v5, 0xff00, v12
	v_perm_b32 v2, v15, v3, s51
	v_or3_b32 v2, v2, v5, v4
	v_and_b32_e32 v5, 0xff, v18
	v_lshlrev_b32_e32 v12, 24, v19
	v_lshlrev_b32_e32 v5, 16, v5
	v_and_b32_e32 v3, 0xff, v16
	v_lshlrev_b32_sdwa v4, v10, v17 dst_sel:DWORD dst_unused:UNUSED_PAD src0_sel:DWORD src1_sel:BYTE_0
	v_or_b32_e32 v5, v12, v5
	v_or3_b32 v3, v5, v4, v3
	global_store_dwordx2 v[6:7], v[2:3], off
	v_lshl_add_u64 v[6:7], v[6:7], 0, s[40:41]
	s_andn2_b64 exec, exec, s[44:45]
	s_cbranch_execnz .LBB11_46
.LBB11_47:
	s_or_b64 exec, exec, s[38:39]
	v_lshl_add_u32 v2, s48, 3, v0
	v_cmp_gt_i32_e32 vcc, s25, v2
	s_and_saveexec_b64 s[0:1], vcc
	s_cbranch_execz .LBB11_50
; %bb.48:
	s_lshl_b64 s[4:5], s[36:37], 1
	s_add_u32 s2, s34, s4
	s_addc_u32 s5, s35, s5
	s_add_u32 s4, s16, s2
	v_ashrrev_i32_e32 v3, 31, v2
	s_addc_u32 s5, s17, s5
	s_lshl_b32 s2, s24, 1
	v_lshl_add_u64 v[4:5], v[2:3], 1, s[4:5]
	s_add_u32 s4, s36, s56
	s_addc_u32 s5, s37, s33
	s_add_u32 s4, s4, s58
	s_addc_u32 s5, s5, s57
	s_add_u32 s4, s20, s4
	s_addc_u32 s5, s21, s5
	s_mov_b32 s3, 0
	v_lshl_add_u64 v[6:7], s[4:5], 0, v[2:3]
	s_mov_b64 s[4:5], 0
	s_mov_b32 s8, 0x7f800000
	s_mov_b32 s9, 0x43700000
	v_mov_b32_e32 v1, 0xc3700000
	s_mov_b64 s[6:7], 0
.LBB11_49:                              ; =>This Inner Loop Header: Depth=1
	global_load_ushort v3, v[4:5], off
	v_lshl_add_u64 v[8:9], v[6:7], 0, s[6:7]
	s_add_u32 s6, s6, s24
	s_addc_u32 s7, s7, 0
	v_lshl_add_u64 v[4:5], v[4:5], 0, s[2:3]
	s_waitcnt vmcnt(0)
	v_cvt_f32_f16_e32 v3, v3
	v_div_scale_f32 v10, s[10:11], s31, s31, v3
	v_rcp_f32_e32 v11, v10
	v_div_scale_f32 v12, vcc, v3, s31, v3
	v_fma_f32 v13, -v10, v11, 1.0
	v_fmac_f32_e32 v11, v13, v11
	v_mul_f32_e32 v13, v12, v11
	v_fma_f32 v14, -v10, v13, v12
	v_fmac_f32_e32 v13, v14, v11
	v_fma_f32 v10, -v10, v13, v12
	v_div_fmas_f32 v10, v10, v11, v13
	v_div_fixup_f32 v3, v10, s31, v3
	v_cvt_f16_f32_e32 v3, v3
	v_mov_b32_e32 v10, 0
	v_cvt_f32_f16_e32 v3, v3
	v_med3_f32 v11, v3, s9, v1
	v_cmp_nlg_f32_e64 vcc, |v3|, s8
	s_nop 1
	v_cndmask_b32_e32 v3, v11, v3, vcc
	v_cvt_pk_fp8_f32 v10, v3, v3
	v_add_u32_e32 v3, s6, v2
	v_cmp_le_i32_e32 vcc, s25, v3
	s_or_b64 s[4:5], vcc, s[4:5]
	global_store_byte v[8:9], v10, off
	s_andn2_b64 exec, exec, s[4:5]
	s_cbranch_execnz .LBB11_49
.LBB11_50:
	s_or_b64 exec, exec, s[0:1]
	s_mov_b64 s[0:1], 0
.LBB11_51:
	s_and_b64 vcc, exec, s[0:1]
	s_cbranch_vccz .LBB11_56
; %bb.52:
	s_ashr_i32 s25, s47, 3
	v_cmp_gt_i32_e32 vcc, s25, v0
	s_and_saveexec_b64 s[36:37], vcc
	s_cbranch_execz .LBB11_55
; %bb.53:
	s_add_u32 s0, s56, s58
	s_addc_u32 s1, s33, s57
	s_add_u32 s0, s20, s0
	v_lshlrev_b32_e32 v2, 3, v0
	v_mov_b32_e32 v3, 0
	s_addc_u32 s1, s21, s1
	s_lshl_b32 s38, s24, 3
	v_lshl_add_u64 v[6:7], s[0:1], 0, v[2:3]
	s_add_u32 s0, s16, s34
	s_mov_b32 s39, 0
	v_lshlrev_b32_e32 v2, 4, v0
	s_addc_u32 s1, s17, s35
	v_lshl_add_u64 v[8:9], s[0:1], 0, v[2:3]
	s_lshl_b32 s16, s24, 4
	s_mov_b32 s17, s39
	s_mov_b64 s[20:21], 0
	s_mov_b32 s34, 0x7f800000
	s_mov_b32 s35, 0x43700000
	v_mov_b32_e32 v1, 0xc3700000
	s_mov_b32 s40, 0x4020c0c
	v_mov_b32_e32 v10, 8
	v_mov_b32_e32 v11, v0
.LBB11_54:                              ; =>This Inner Loop Header: Depth=1
	global_load_dwordx4 v[2:5], v[8:9], off
	v_add_u32_e32 v11, s24, v11
	v_cmp_le_i32_e32 vcc, s25, v11
	s_or_b64 s[20:21], vcc, s[20:21]
	v_mov_b32_e32 v12, 0
	v_mov_b32_e32 v13, 0
	;; [unrolled: 1-line block ×8, first 2 shown]
	v_lshl_add_u64 v[8:9], v[8:9], 0, s[16:17]
	s_waitcnt vmcnt(0)
	v_cvt_f32_f16_e32 v20, v2
	v_cvt_f32_f16_sdwa v2, v2 dst_sel:DWORD dst_unused:UNUSED_PAD src0_sel:WORD_1
	v_cvt_f32_f16_e32 v21, v3
	v_cvt_f32_f16_sdwa v3, v3 dst_sel:DWORD dst_unused:UNUSED_PAD src0_sel:WORD_1
	v_cvt_f32_f16_e32 v22, v4
	v_div_scale_f32 v24, s[0:1], s31, s31, v20
	v_cvt_f32_f16_sdwa v4, v4 dst_sel:DWORD dst_unused:UNUSED_PAD src0_sel:WORD_1
	v_div_scale_f32 v26, s[0:1], s31, s31, v2
	v_rcp_f32_e32 v40, v24
	v_cvt_f32_f16_e32 v23, v5
	v_div_scale_f32 v28, s[2:3], s31, s31, v21
	v_rcp_f32_e32 v41, v26
	v_cvt_f32_f16_sdwa v5, v5 dst_sel:DWORD dst_unused:UNUSED_PAD src0_sel:WORD_1
	v_div_scale_f32 v30, s[4:5], s31, s31, v3
	v_rcp_f32_e32 v42, v28
	v_div_scale_f32 v32, s[6:7], s31, s31, v22
	v_rcp_f32_e32 v43, v30
	;; [unrolled: 2-line block ×3, first 2 shown]
	v_fma_f32 v48, -v24, v40, 1.0
	v_div_scale_f32 v25, vcc, v20, s31, v20
	v_div_scale_f32 v36, s[10:11], s31, s31, v23
	v_rcp_f32_e32 v45, v34
	v_fma_f32 v49, -v26, v41, 1.0
	v_fmac_f32_e32 v40, v48, v40
	v_div_scale_f32 v27, s[0:1], v2, s31, v2
	v_div_scale_f32 v38, s[12:13], s31, s31, v5
	v_rcp_f32_e32 v46, v36
	v_fma_f32 v50, -v28, v42, 1.0
	v_fmac_f32_e32 v41, v49, v41
	v_mul_f32_e32 v48, v25, v40
	v_div_scale_f32 v29, s[2:3], v21, s31, v21
	v_rcp_f32_e32 v47, v38
	v_fma_f32 v51, -v30, v43, 1.0
	v_fmac_f32_e32 v42, v50, v42
	v_mul_f32_e32 v49, v27, v41
	v_fma_f32 v56, -v24, v48, v25
	v_div_scale_f32 v31, s[4:5], v3, s31, v3
	v_fma_f32 v52, -v32, v44, 1.0
	v_fmac_f32_e32 v43, v51, v43
	v_mul_f32_e32 v50, v29, v42
	v_fma_f32 v57, -v26, v49, v27
	v_fmac_f32_e32 v48, v56, v40
	v_div_scale_f32 v33, s[6:7], v22, s31, v22
	v_fma_f32 v53, -v34, v45, 1.0
	v_fmac_f32_e32 v44, v52, v44
	v_mul_f32_e32 v51, v31, v43
	v_fma_f32 v58, -v28, v50, v29
	v_fmac_f32_e32 v49, v57, v41
	v_fma_f32 v24, -v24, v48, v25
	v_div_scale_f32 v35, s[8:9], v4, s31, v4
	v_fma_f32 v54, -v36, v46, 1.0
	v_fmac_f32_e32 v45, v53, v45
	v_mul_f32_e32 v52, v33, v44
	v_fma_f32 v59, -v30, v51, v31
	v_fmac_f32_e32 v50, v58, v42
	v_fma_f32 v25, -v26, v49, v27
	v_div_fmas_f32 v24, v24, v40, v48
	s_mov_b64 vcc, s[0:1]
	v_div_scale_f32 v37, s[10:11], v23, s31, v23
	v_fma_f32 v55, -v38, v47, 1.0
	v_fmac_f32_e32 v46, v54, v46
	v_mul_f32_e32 v53, v35, v45
	v_fma_f32 v60, -v32, v52, v33
	v_fmac_f32_e32 v51, v59, v43
	v_fma_f32 v26, -v28, v50, v29
	v_div_fixup_f32 v20, v24, s31, v20
	v_div_fmas_f32 v24, v25, v41, v49
	s_mov_b64 vcc, s[2:3]
	v_div_scale_f32 v39, s[12:13], v5, s31, v5
	v_fmac_f32_e32 v47, v55, v47
	v_mul_f32_e32 v54, v37, v46
	v_fma_f32 v56, -v34, v53, v35
	v_fmac_f32_e32 v52, v60, v44
	v_fma_f32 v27, -v30, v51, v31
	v_cvt_f16_f32_e32 v20, v20
	v_div_fixup_f32 v2, v24, s31, v2
	v_div_fmas_f32 v24, v26, v42, v50
	s_mov_b64 vcc, s[4:5]
	v_mul_f32_e32 v55, v39, v47
	v_fma_f32 v57, -v36, v54, v37
	v_fmac_f32_e32 v53, v56, v45
	v_fma_f32 v28, -v32, v52, v33
	v_cvt_f16_f32_e32 v2, v2
	v_div_fixup_f32 v21, v24, s31, v21
	v_div_fmas_f32 v24, v27, v43, v51
	s_mov_b64 vcc, s[6:7]
	v_fma_f32 v58, -v38, v55, v39
	v_fmac_f32_e32 v54, v57, v46
	v_fma_f32 v29, -v34, v53, v35
	v_cvt_f16_f32_e32 v21, v21
	v_div_fixup_f32 v3, v24, s31, v3
	v_div_fmas_f32 v24, v28, v44, v52
	s_mov_b64 vcc, s[8:9]
	v_fmac_f32_e32 v55, v58, v47
	v_fma_f32 v30, -v36, v54, v37
	v_cvt_f16_f32_e32 v3, v3
	v_div_fixup_f32 v22, v24, s31, v22
	v_div_fmas_f32 v24, v29, v45, v53
	s_mov_b64 vcc, s[10:11]
	v_fma_f32 v31, -v38, v55, v39
	v_cvt_f32_f16_e32 v20, v20
	v_cvt_f16_f32_e32 v22, v22
	v_div_fixup_f32 v4, v24, s31, v4
	v_div_fmas_f32 v24, v30, v46, v54
	s_mov_b64 vcc, s[12:13]
	v_cvt_f32_f16_e32 v2, v2
	v_cvt_f16_f32_e32 v4, v4
	v_div_fixup_f32 v23, v24, s31, v23
	v_div_fmas_f32 v24, v31, v47, v55
	v_cvt_f32_f16_e32 v21, v21
	v_cvt_f16_f32_e32 v23, v23
	v_div_fixup_f32 v5, v24, s31, v5
	v_cvt_f32_f16_e32 v3, v3
	v_cvt_f16_f32_e32 v5, v5
	v_med3_f32 v24, v20, s35, v1
	v_cvt_f32_f16_e32 v22, v22
	v_cmp_nlg_f32_e64 vcc, |v20|, s34
	v_cvt_f32_f16_e32 v4, v4
	v_cvt_f32_f16_e32 v23, v23
	v_cndmask_b32_e32 v20, v24, v20, vcc
	v_med3_f32 v24, v2, s35, v1
	v_cmp_nlg_f32_e64 vcc, |v2|, s34
	v_cvt_pk_fp8_f32 v12, v20, v20
	v_med3_f32 v20, v21, s35, v1
	v_cndmask_b32_e32 v2, v24, v2, vcc
	v_cmp_nlg_f32_e64 vcc, |v21|, s34
	v_cvt_pk_fp8_f32 v13, v2, v2
	v_cvt_f32_f16_e32 v5, v5
	v_cndmask_b32_e32 v2, v20, v21, vcc
	v_med3_f32 v20, v3, s35, v1
	v_cmp_nlg_f32_e64 vcc, |v3|, s34
	v_cvt_pk_fp8_f32 v14, v2, v2
	s_nop 0
	v_cndmask_b32_e32 v2, v20, v3, vcc
	v_med3_f32 v3, v22, s35, v1
	v_cmp_nlg_f32_e64 vcc, |v22|, s34
	v_cvt_pk_fp8_f32 v15, v2, v2
	s_nop 0
	;; [unrolled: 5-line block ×3, first 2 shown]
	v_cndmask_b32_e32 v2, v3, v4, vcc
	v_med3_f32 v3, v23, s35, v1
	v_cmp_nlg_f32_e64 vcc, |v23|, s34
	v_cvt_pk_fp8_f32 v17, v2, v2
	v_and_b32_e32 v4, 0xff, v12
	v_cndmask_b32_e32 v2, v3, v23, vcc
	v_med3_f32 v3, v5, s35, v1
	v_cmp_nlg_f32_e64 vcc, |v5|, s34
	v_cvt_pk_fp8_f32 v18, v2, v2
	v_lshlrev_b32_e32 v12, 8, v13
	v_cndmask_b32_e32 v2, v3, v5, vcc
	v_cvt_pk_fp8_f32 v19, v2, v2
	v_lshlrev_b32_e32 v3, 16, v14
	v_and_b32_e32 v5, 0xff00, v12
	v_perm_b32 v2, v15, v3, s40
	v_or3_b32 v2, v2, v5, v4
	v_and_b32_e32 v5, 0xff, v18
	v_lshlrev_b32_e32 v12, 24, v19
	v_lshlrev_b32_e32 v5, 16, v5
	v_and_b32_e32 v3, 0xff, v16
	v_lshlrev_b32_sdwa v4, v10, v17 dst_sel:DWORD dst_unused:UNUSED_PAD src0_sel:DWORD src1_sel:BYTE_0
	v_or_b32_e32 v5, v12, v5
	v_or3_b32 v3, v5, v4, v3
	global_store_dwordx2 v[6:7], v[2:3], off
	v_lshl_add_u64 v[6:7], v[6:7], 0, s[38:39]
	s_andn2_b64 exec, exec, s[20:21]
	s_cbranch_execnz .LBB11_54
.LBB11_55:
	s_or_b64 exec, exec, s[36:37]
.LBB11_56:
	s_and_b32 s0, s30, 15
	s_mov_b32 s1, 0
	s_cmp_lg_u64 s[0:1], 0
	s_cselect_b64 s[2:3], -1, 0
	s_xor_b64 s[4:5], s[26:27], -1
	s_or_b64 s[2:3], s[4:5], s[2:3]
	s_mov_b64 s[0:1], -1
	s_and_b64 vcc, exec, s[2:3]
	s_cbranch_vccz .LBB11_67
; %bb.57:
	s_sub_i32 s0, 0, s30
	s_bfe_u32 s0, s0, 0x30001
	s_min_i32 s16, s0, s47
	v_cmp_gt_i32_e32 vcc, s16, v0
	s_and_saveexec_b64 s[0:1], vcc
	s_cbranch_execz .LBB11_60
; %bb.58:
	v_mov_b32_e32 v1, 0
	s_add_u32 s2, s18, s14
	s_mov_b32 s25, 0
	v_lshlrev_b32_e32 v2, 1, v0
	v_mov_b32_e32 v3, v1
	s_addc_u32 s3, s19, s15
	v_lshl_add_u64 v[2:3], s[2:3], 0, v[2:3]
	s_lshl_b32 s2, s24, 1
	s_mov_b32 s3, s25
	s_mov_b64 s[4:5], 0
	s_mov_b32 s6, 0x7f800000
	s_mov_b32 s7, 0x43700000
	v_mov_b32_e32 v6, 0xc3700000
	v_mov_b64_e32 v[4:5], v[0:1]
.LBB11_59:                              ; =>This Inner Loop Header: Depth=1
	global_load_ushort v1, v[2:3], off
	v_lshl_add_u64 v[2:3], v[2:3], 0, s[2:3]
	s_waitcnt vmcnt(0)
	v_cvt_f32_f16_e32 v1, v1
	v_div_scale_f32 v7, s[8:9], s46, s46, v1
	v_rcp_f32_e32 v8, v7
	v_div_scale_f32 v9, vcc, v1, s46, v1
	v_fma_f32 v10, -v7, v8, 1.0
	v_fmac_f32_e32 v8, v10, v8
	v_mul_f32_e32 v10, v9, v8
	v_fma_f32 v11, -v7, v10, v9
	v_fmac_f32_e32 v10, v11, v8
	v_fma_f32 v7, -v7, v10, v9
	v_div_fmas_f32 v7, v7, v8, v10
	v_div_fixup_f32 v1, v7, s46, v1
	v_cvt_f16_f32_e32 v1, v1
	v_mov_b32_e32 v7, 0
	v_lshl_add_u64 v[8:9], s[28:29], 0, v[4:5]
	v_lshl_add_u64 v[4:5], v[4:5], 0, s[24:25]
	v_cvt_f32_f16_e32 v1, v1
	v_med3_f32 v10, v1, s7, v6
	v_cmp_nlg_f32_e64 vcc, |v1|, s6
	s_nop 1
	v_cndmask_b32_e32 v1, v10, v1, vcc
	v_cvt_pk_fp8_f32 v7, v1, v1
	v_cmp_le_i32_e32 vcc, s16, v4
	s_or_b64 s[4:5], vcc, s[4:5]
	global_store_byte v[8:9], v7, off
	s_andn2_b64 exec, exec, s[4:5]
	s_cbranch_execnz .LBB11_59
.LBB11_60:
	s_or_b64 exec, exec, s[0:1]
	s_sub_i32 s25, s47, s16
	s_ashr_i32 s0, s25, 31
	s_lshr_b32 s0, s0, 29
	s_add_i32 s0, s25, s0
	s_ashr_i32 s34, s0, 3
	s_ashr_i32 s17, s16, 31
	v_cmp_gt_i32_e32 vcc, s34, v0
	s_and_saveexec_b64 s[20:21], vcc
	s_cbranch_execz .LBB11_63
; %bb.61:
	s_add_u32 s0, s16, s56
	s_addc_u32 s1, s17, s33
	s_add_u32 s0, s0, s58
	s_addc_u32 s1, s1, s57
	s_add_u32 s0, s22, s0
	v_lshlrev_b32_e32 v2, 3, v0
	v_mov_b32_e32 v3, 0
	s_addc_u32 s1, s23, s1
	v_lshl_add_u64 v[6:7], s[0:1], 0, v[2:3]
	s_lshl_b32 s26, s24, 3
	s_lshl_b64 s[0:1], s[16:17], 1
	s_add_u32 s0, s18, s0
	s_addc_u32 s1, s19, s1
	s_add_u32 s0, s0, s14
	s_mov_b32 s27, 0
	v_lshlrev_b32_e32 v2, 4, v0
	s_addc_u32 s1, s1, s15
	v_lshl_add_u64 v[8:9], s[0:1], 0, v[2:3]
	s_lshl_b32 s28, s24, 4
	s_mov_b32 s29, s27
	s_mov_b64 s[30:31], 0
	s_mov_b32 s35, 0x7f800000
	s_mov_b32 s36, 0x43700000
	v_mov_b32_e32 v1, 0xc3700000
	s_mov_b32 s37, 0x4020c0c
	v_mov_b32_e32 v10, 8
	v_mov_b32_e32 v11, v0
.LBB11_62:                              ; =>This Inner Loop Header: Depth=1
	global_load_dwordx4 v[2:5], v[8:9], off
	v_add_u32_e32 v11, s24, v11
	v_cmp_le_i32_e32 vcc, s34, v11
	s_or_b64 s[30:31], vcc, s[30:31]
	v_mov_b32_e32 v12, 0
	v_mov_b32_e32 v13, 0
	;; [unrolled: 1-line block ×8, first 2 shown]
	v_lshl_add_u64 v[8:9], v[8:9], 0, s[28:29]
	s_waitcnt vmcnt(0)
	v_cvt_f32_f16_e32 v20, v2
	v_cvt_f32_f16_sdwa v2, v2 dst_sel:DWORD dst_unused:UNUSED_PAD src0_sel:WORD_1
	v_cvt_f32_f16_e32 v21, v3
	v_cvt_f32_f16_sdwa v3, v3 dst_sel:DWORD dst_unused:UNUSED_PAD src0_sel:WORD_1
	v_cvt_f32_f16_e32 v22, v4
	v_div_scale_f32 v24, s[0:1], s46, s46, v20
	v_cvt_f32_f16_sdwa v4, v4 dst_sel:DWORD dst_unused:UNUSED_PAD src0_sel:WORD_1
	v_div_scale_f32 v26, s[0:1], s46, s46, v2
	v_rcp_f32_e32 v40, v24
	v_cvt_f32_f16_e32 v23, v5
	v_div_scale_f32 v28, s[2:3], s46, s46, v21
	v_rcp_f32_e32 v41, v26
	v_cvt_f32_f16_sdwa v5, v5 dst_sel:DWORD dst_unused:UNUSED_PAD src0_sel:WORD_1
	v_div_scale_f32 v30, s[4:5], s46, s46, v3
	v_rcp_f32_e32 v42, v28
	v_div_scale_f32 v32, s[6:7], s46, s46, v22
	v_rcp_f32_e32 v43, v30
	;; [unrolled: 2-line block ×3, first 2 shown]
	v_fma_f32 v48, -v24, v40, 1.0
	v_div_scale_f32 v25, vcc, v20, s46, v20
	v_div_scale_f32 v36, s[10:11], s46, s46, v23
	v_rcp_f32_e32 v45, v34
	v_fma_f32 v49, -v26, v41, 1.0
	v_fmac_f32_e32 v40, v48, v40
	v_div_scale_f32 v27, s[0:1], v2, s46, v2
	v_div_scale_f32 v38, s[12:13], s46, s46, v5
	v_rcp_f32_e32 v46, v36
	v_fma_f32 v50, -v28, v42, 1.0
	v_fmac_f32_e32 v41, v49, v41
	v_mul_f32_e32 v48, v25, v40
	v_div_scale_f32 v29, s[2:3], v21, s46, v21
	v_rcp_f32_e32 v47, v38
	v_fma_f32 v51, -v30, v43, 1.0
	v_fmac_f32_e32 v42, v50, v42
	v_mul_f32_e32 v49, v27, v41
	v_fma_f32 v56, -v24, v48, v25
	v_div_scale_f32 v31, s[4:5], v3, s46, v3
	v_fma_f32 v52, -v32, v44, 1.0
	v_fmac_f32_e32 v43, v51, v43
	v_mul_f32_e32 v50, v29, v42
	v_fma_f32 v57, -v26, v49, v27
	v_fmac_f32_e32 v48, v56, v40
	v_div_scale_f32 v33, s[6:7], v22, s46, v22
	v_fma_f32 v53, -v34, v45, 1.0
	v_fmac_f32_e32 v44, v52, v44
	v_mul_f32_e32 v51, v31, v43
	v_fma_f32 v58, -v28, v50, v29
	v_fmac_f32_e32 v49, v57, v41
	v_fma_f32 v24, -v24, v48, v25
	v_div_scale_f32 v35, s[8:9], v4, s46, v4
	v_fma_f32 v54, -v36, v46, 1.0
	v_fmac_f32_e32 v45, v53, v45
	v_mul_f32_e32 v52, v33, v44
	v_fma_f32 v59, -v30, v51, v31
	v_fmac_f32_e32 v50, v58, v42
	v_fma_f32 v25, -v26, v49, v27
	v_div_fmas_f32 v24, v24, v40, v48
	s_mov_b64 vcc, s[0:1]
	v_div_scale_f32 v37, s[10:11], v23, s46, v23
	v_fma_f32 v55, -v38, v47, 1.0
	v_fmac_f32_e32 v46, v54, v46
	v_mul_f32_e32 v53, v35, v45
	v_fma_f32 v60, -v32, v52, v33
	v_fmac_f32_e32 v51, v59, v43
	v_fma_f32 v26, -v28, v50, v29
	v_div_fixup_f32 v20, v24, s46, v20
	v_div_fmas_f32 v24, v25, v41, v49
	s_mov_b64 vcc, s[2:3]
	v_div_scale_f32 v39, s[12:13], v5, s46, v5
	v_fmac_f32_e32 v47, v55, v47
	v_mul_f32_e32 v54, v37, v46
	v_fma_f32 v56, -v34, v53, v35
	v_fmac_f32_e32 v52, v60, v44
	v_fma_f32 v27, -v30, v51, v31
	v_cvt_f16_f32_e32 v20, v20
	v_div_fixup_f32 v2, v24, s46, v2
	v_div_fmas_f32 v24, v26, v42, v50
	s_mov_b64 vcc, s[4:5]
	v_mul_f32_e32 v55, v39, v47
	v_fma_f32 v57, -v36, v54, v37
	v_fmac_f32_e32 v53, v56, v45
	v_fma_f32 v28, -v32, v52, v33
	v_cvt_f16_f32_e32 v2, v2
	v_div_fixup_f32 v21, v24, s46, v21
	v_div_fmas_f32 v24, v27, v43, v51
	s_mov_b64 vcc, s[6:7]
	v_fma_f32 v58, -v38, v55, v39
	v_fmac_f32_e32 v54, v57, v46
	v_fma_f32 v29, -v34, v53, v35
	v_cvt_f16_f32_e32 v21, v21
	v_div_fixup_f32 v3, v24, s46, v3
	v_div_fmas_f32 v24, v28, v44, v52
	s_mov_b64 vcc, s[8:9]
	v_fmac_f32_e32 v55, v58, v47
	v_fma_f32 v30, -v36, v54, v37
	v_cvt_f16_f32_e32 v3, v3
	v_div_fixup_f32 v22, v24, s46, v22
	v_div_fmas_f32 v24, v29, v45, v53
	s_mov_b64 vcc, s[10:11]
	v_fma_f32 v31, -v38, v55, v39
	v_cvt_f32_f16_e32 v20, v20
	v_cvt_f16_f32_e32 v22, v22
	v_div_fixup_f32 v4, v24, s46, v4
	v_div_fmas_f32 v24, v30, v46, v54
	s_mov_b64 vcc, s[12:13]
	v_cvt_f32_f16_e32 v2, v2
	v_cvt_f16_f32_e32 v4, v4
	v_div_fixup_f32 v23, v24, s46, v23
	v_div_fmas_f32 v24, v31, v47, v55
	v_cvt_f32_f16_e32 v21, v21
	v_cvt_f16_f32_e32 v23, v23
	v_div_fixup_f32 v5, v24, s46, v5
	v_cvt_f32_f16_e32 v3, v3
	v_cvt_f16_f32_e32 v5, v5
	v_med3_f32 v24, v20, s36, v1
	v_cvt_f32_f16_e32 v22, v22
	v_cmp_nlg_f32_e64 vcc, |v20|, s35
	v_cvt_f32_f16_e32 v4, v4
	v_cvt_f32_f16_e32 v23, v23
	v_cndmask_b32_e32 v20, v24, v20, vcc
	v_med3_f32 v24, v2, s36, v1
	v_cmp_nlg_f32_e64 vcc, |v2|, s35
	v_cvt_pk_fp8_f32 v12, v20, v20
	v_med3_f32 v20, v21, s36, v1
	v_cndmask_b32_e32 v2, v24, v2, vcc
	v_cmp_nlg_f32_e64 vcc, |v21|, s35
	v_cvt_pk_fp8_f32 v13, v2, v2
	v_cvt_f32_f16_e32 v5, v5
	v_cndmask_b32_e32 v2, v20, v21, vcc
	v_med3_f32 v20, v3, s36, v1
	v_cmp_nlg_f32_e64 vcc, |v3|, s35
	v_cvt_pk_fp8_f32 v14, v2, v2
	s_nop 0
	v_cndmask_b32_e32 v2, v20, v3, vcc
	v_med3_f32 v3, v22, s36, v1
	v_cmp_nlg_f32_e64 vcc, |v22|, s35
	v_cvt_pk_fp8_f32 v15, v2, v2
	s_nop 0
	;; [unrolled: 5-line block ×3, first 2 shown]
	v_cndmask_b32_e32 v2, v3, v4, vcc
	v_med3_f32 v3, v23, s36, v1
	v_cmp_nlg_f32_e64 vcc, |v23|, s35
	v_cvt_pk_fp8_f32 v17, v2, v2
	v_and_b32_e32 v4, 0xff, v12
	v_cndmask_b32_e32 v2, v3, v23, vcc
	v_med3_f32 v3, v5, s36, v1
	v_cmp_nlg_f32_e64 vcc, |v5|, s35
	v_cvt_pk_fp8_f32 v18, v2, v2
	v_lshlrev_b32_e32 v12, 8, v13
	v_cndmask_b32_e32 v2, v3, v5, vcc
	v_cvt_pk_fp8_f32 v19, v2, v2
	v_lshlrev_b32_e32 v3, 16, v14
	v_and_b32_e32 v5, 0xff00, v12
	v_perm_b32 v2, v15, v3, s37
	v_or3_b32 v2, v2, v5, v4
	v_and_b32_e32 v5, 0xff, v18
	v_lshlrev_b32_e32 v12, 24, v19
	v_lshlrev_b32_e32 v5, 16, v5
	v_and_b32_e32 v3, 0xff, v16
	v_lshlrev_b32_sdwa v4, v10, v17 dst_sel:DWORD dst_unused:UNUSED_PAD src0_sel:DWORD src1_sel:BYTE_0
	v_or_b32_e32 v5, v12, v5
	v_or3_b32 v3, v5, v4, v3
	global_store_dwordx2 v[6:7], v[2:3], off
	v_lshl_add_u64 v[6:7], v[6:7], 0, s[26:27]
	s_andn2_b64 exec, exec, s[30:31]
	s_cbranch_execnz .LBB11_62
.LBB11_63:
	s_or_b64 exec, exec, s[20:21]
	v_lshl_add_u32 v2, s34, 3, v0
	v_cmp_gt_i32_e32 vcc, s25, v2
	s_and_saveexec_b64 s[0:1], vcc
	s_cbranch_execz .LBB11_66
; %bb.64:
	s_lshl_b64 s[4:5], s[16:17], 1
	s_add_u32 s2, s14, s4
	s_addc_u32 s5, s15, s5
	s_add_u32 s4, s18, s2
	v_ashrrev_i32_e32 v3, 31, v2
	s_addc_u32 s5, s19, s5
	s_lshl_b32 s2, s24, 1
	v_lshl_add_u64 v[4:5], v[2:3], 1, s[4:5]
	s_add_u32 s4, s16, s56
	s_addc_u32 s5, s17, s33
	s_add_u32 s4, s4, s58
	s_addc_u32 s5, s5, s57
	;; [unrolled: 2-line block ×3, first 2 shown]
	s_mov_b32 s3, 0
	v_lshl_add_u64 v[6:7], s[4:5], 0, v[2:3]
	s_mov_b64 s[4:5], 0
	s_mov_b32 s8, 0x7f800000
	s_mov_b32 s9, 0x43700000
	v_mov_b32_e32 v1, 0xc3700000
	s_mov_b64 s[6:7], 0
.LBB11_65:                              ; =>This Inner Loop Header: Depth=1
	global_load_ushort v3, v[4:5], off
	v_lshl_add_u64 v[8:9], v[6:7], 0, s[6:7]
	s_add_u32 s6, s6, s24
	s_addc_u32 s7, s7, 0
	v_lshl_add_u64 v[4:5], v[4:5], 0, s[2:3]
	s_waitcnt vmcnt(0)
	v_cvt_f32_f16_e32 v3, v3
	v_div_scale_f32 v10, s[10:11], s46, s46, v3
	v_rcp_f32_e32 v11, v10
	v_div_scale_f32 v12, vcc, v3, s46, v3
	v_fma_f32 v13, -v10, v11, 1.0
	v_fmac_f32_e32 v11, v13, v11
	v_mul_f32_e32 v13, v12, v11
	v_fma_f32 v14, -v10, v13, v12
	v_fmac_f32_e32 v13, v14, v11
	v_fma_f32 v10, -v10, v13, v12
	v_div_fmas_f32 v10, v10, v11, v13
	v_div_fixup_f32 v3, v10, s46, v3
	v_cvt_f16_f32_e32 v3, v3
	v_mov_b32_e32 v10, 0
	v_cvt_f32_f16_e32 v3, v3
	v_med3_f32 v11, v3, s9, v1
	v_cmp_nlg_f32_e64 vcc, |v3|, s8
	s_nop 1
	v_cndmask_b32_e32 v3, v11, v3, vcc
	v_cvt_pk_fp8_f32 v10, v3, v3
	v_add_u32_e32 v3, s6, v2
	v_cmp_le_i32_e32 vcc, s25, v3
	s_or_b64 s[4:5], vcc, s[4:5]
	global_store_byte v[8:9], v10, off
	s_andn2_b64 exec, exec, s[4:5]
	s_cbranch_execnz .LBB11_65
.LBB11_66:
	s_or_b64 exec, exec, s[0:1]
	s_mov_b64 s[0:1], 0
.LBB11_67:
	s_and_b64 vcc, exec, s[0:1]
	s_cbranch_vccz .LBB11_71
; %bb.68:
	s_ashr_i32 s20, s47, 3
	v_cmp_gt_i32_e32 vcc, s20, v0
	s_and_saveexec_b64 s[0:1], vcc
	s_cbranch_execz .LBB11_71
; %bb.69:
	s_add_u32 s0, s56, s58
	s_addc_u32 s1, s33, s57
	s_add_u32 s0, s22, s0
	v_lshlrev_b32_e32 v2, 3, v0
	v_mov_b32_e32 v3, 0
	s_addc_u32 s1, s23, s1
	s_lshl_b32 s16, s24, 3
	v_lshl_add_u64 v[6:7], s[0:1], 0, v[2:3]
	s_add_u32 s0, s18, s14
	s_mov_b32 s17, 0
	v_lshlrev_b32_e32 v2, 4, v0
	s_addc_u32 s1, s19, s15
	v_lshl_add_u64 v[8:9], s[0:1], 0, v[2:3]
	s_lshl_b32 s14, s24, 4
	s_mov_b32 s15, s17
	s_mov_b64 s[18:19], 0
	s_mov_b32 s21, 0x7f800000
	s_mov_b32 s22, 0x43700000
	v_mov_b32_e32 v1, 0xc3700000
	s_mov_b32 s23, 0x4020c0c
	v_mov_b32_e32 v10, 8
.LBB11_70:                              ; =>This Inner Loop Header: Depth=1
	global_load_dwordx4 v[2:5], v[8:9], off
	v_add_u32_e32 v0, s24, v0
	v_cmp_le_i32_e32 vcc, s20, v0
	s_or_b64 s[18:19], vcc, s[18:19]
	v_mov_b32_e32 v11, 0
	v_mov_b32_e32 v12, 0
	;; [unrolled: 1-line block ×8, first 2 shown]
	v_lshl_add_u64 v[8:9], v[8:9], 0, s[14:15]
	s_waitcnt vmcnt(0)
	v_cvt_f32_f16_e32 v19, v2
	v_cvt_f32_f16_sdwa v2, v2 dst_sel:DWORD dst_unused:UNUSED_PAD src0_sel:WORD_1
	v_cvt_f32_f16_e32 v20, v3
	v_cvt_f32_f16_sdwa v3, v3 dst_sel:DWORD dst_unused:UNUSED_PAD src0_sel:WORD_1
	v_cvt_f32_f16_e32 v21, v4
	v_div_scale_f32 v23, s[0:1], s46, s46, v19
	v_cvt_f32_f16_sdwa v4, v4 dst_sel:DWORD dst_unused:UNUSED_PAD src0_sel:WORD_1
	v_div_scale_f32 v25, s[0:1], s46, s46, v2
	v_rcp_f32_e32 v39, v23
	v_cvt_f32_f16_e32 v22, v5
	v_div_scale_f32 v27, s[2:3], s46, s46, v20
	v_rcp_f32_e32 v40, v25
	v_cvt_f32_f16_sdwa v5, v5 dst_sel:DWORD dst_unused:UNUSED_PAD src0_sel:WORD_1
	v_div_scale_f32 v29, s[4:5], s46, s46, v3
	v_rcp_f32_e32 v41, v27
	v_div_scale_f32 v31, s[6:7], s46, s46, v21
	v_rcp_f32_e32 v42, v29
	v_div_scale_f32 v33, s[8:9], s46, s46, v4
	v_rcp_f32_e32 v43, v31
	v_fma_f32 v47, -v23, v39, 1.0
	v_div_scale_f32 v24, vcc, v19, s46, v19
	v_div_scale_f32 v35, s[10:11], s46, s46, v22
	v_rcp_f32_e32 v44, v33
	v_fma_f32 v48, -v25, v40, 1.0
	v_fmac_f32_e32 v39, v47, v39
	v_div_scale_f32 v26, s[0:1], v2, s46, v2
	v_div_scale_f32 v37, s[12:13], s46, s46, v5
	v_rcp_f32_e32 v45, v35
	v_fma_f32 v49, -v27, v41, 1.0
	v_fmac_f32_e32 v40, v48, v40
	v_mul_f32_e32 v47, v24, v39
	v_div_scale_f32 v28, s[2:3], v20, s46, v20
	v_rcp_f32_e32 v46, v37
	v_fma_f32 v50, -v29, v42, 1.0
	v_fmac_f32_e32 v41, v49, v41
	v_mul_f32_e32 v48, v26, v40
	v_fma_f32 v55, -v23, v47, v24
	v_div_scale_f32 v30, s[4:5], v3, s46, v3
	v_fma_f32 v51, -v31, v43, 1.0
	v_fmac_f32_e32 v42, v50, v42
	v_mul_f32_e32 v49, v28, v41
	v_fma_f32 v56, -v25, v48, v26
	v_fmac_f32_e32 v47, v55, v39
	v_div_scale_f32 v32, s[6:7], v21, s46, v21
	v_fma_f32 v52, -v33, v44, 1.0
	v_fmac_f32_e32 v43, v51, v43
	v_mul_f32_e32 v50, v30, v42
	v_fma_f32 v57, -v27, v49, v28
	v_fmac_f32_e32 v48, v56, v40
	v_fma_f32 v23, -v23, v47, v24
	v_div_scale_f32 v34, s[8:9], v4, s46, v4
	v_fma_f32 v53, -v35, v45, 1.0
	v_fmac_f32_e32 v44, v52, v44
	v_mul_f32_e32 v51, v32, v43
	v_fma_f32 v58, -v29, v50, v30
	v_fmac_f32_e32 v49, v57, v41
	v_fma_f32 v24, -v25, v48, v26
	v_div_fmas_f32 v23, v23, v39, v47
	s_mov_b64 vcc, s[0:1]
	v_div_scale_f32 v36, s[10:11], v22, s46, v22
	v_fma_f32 v54, -v37, v46, 1.0
	v_fmac_f32_e32 v45, v53, v45
	v_mul_f32_e32 v52, v34, v44
	v_fma_f32 v55, -v31, v51, v32
	v_fmac_f32_e32 v50, v58, v42
	v_fma_f32 v25, -v27, v49, v28
	v_div_fixup_f32 v19, v23, s46, v19
	v_div_fmas_f32 v23, v24, v40, v48
	s_mov_b64 vcc, s[2:3]
	v_div_scale_f32 v38, s[12:13], v5, s46, v5
	v_fmac_f32_e32 v46, v54, v46
	v_mul_f32_e32 v53, v36, v45
	v_fma_f32 v56, -v33, v52, v34
	v_fmac_f32_e32 v51, v55, v43
	v_fma_f32 v26, -v29, v50, v30
	v_cvt_f16_f32_e32 v19, v19
	v_div_fixup_f32 v2, v23, s46, v2
	v_div_fmas_f32 v23, v25, v41, v49
	s_mov_b64 vcc, s[4:5]
	v_mul_f32_e32 v54, v38, v46
	v_fma_f32 v57, -v35, v53, v36
	v_fmac_f32_e32 v52, v56, v44
	v_fma_f32 v27, -v31, v51, v32
	v_cvt_f16_f32_e32 v2, v2
	v_div_fixup_f32 v20, v23, s46, v20
	v_div_fmas_f32 v23, v26, v42, v50
	s_mov_b64 vcc, s[6:7]
	v_fma_f32 v58, -v37, v54, v38
	v_fmac_f32_e32 v53, v57, v45
	v_fma_f32 v28, -v33, v52, v34
	v_cvt_f16_f32_e32 v20, v20
	v_div_fixup_f32 v3, v23, s46, v3
	v_div_fmas_f32 v23, v27, v43, v51
	s_mov_b64 vcc, s[8:9]
	v_fmac_f32_e32 v54, v58, v46
	v_fma_f32 v29, -v35, v53, v36
	v_cvt_f16_f32_e32 v3, v3
	v_div_fixup_f32 v21, v23, s46, v21
	v_div_fmas_f32 v23, v28, v44, v52
	s_mov_b64 vcc, s[10:11]
	v_fma_f32 v30, -v37, v54, v38
	v_cvt_f32_f16_e32 v19, v19
	v_cvt_f16_f32_e32 v21, v21
	v_div_fixup_f32 v4, v23, s46, v4
	v_div_fmas_f32 v23, v29, v45, v53
	s_mov_b64 vcc, s[12:13]
	v_cvt_f32_f16_e32 v2, v2
	v_cvt_f16_f32_e32 v4, v4
	v_div_fixup_f32 v22, v23, s46, v22
	v_div_fmas_f32 v23, v30, v46, v54
	v_cvt_f32_f16_e32 v20, v20
	v_cvt_f16_f32_e32 v22, v22
	v_div_fixup_f32 v5, v23, s46, v5
	v_cvt_f32_f16_e32 v3, v3
	v_cvt_f16_f32_e32 v5, v5
	v_med3_f32 v23, v19, s22, v1
	v_cvt_f32_f16_e32 v21, v21
	v_cmp_nlg_f32_e64 vcc, |v19|, s21
	v_cvt_f32_f16_e32 v4, v4
	v_cvt_f32_f16_e32 v22, v22
	v_cndmask_b32_e32 v19, v23, v19, vcc
	v_med3_f32 v23, v2, s22, v1
	v_cmp_nlg_f32_e64 vcc, |v2|, s21
	v_cvt_pk_fp8_f32 v11, v19, v19
	v_med3_f32 v19, v20, s22, v1
	v_cndmask_b32_e32 v2, v23, v2, vcc
	v_cmp_nlg_f32_e64 vcc, |v20|, s21
	v_cvt_pk_fp8_f32 v12, v2, v2
	v_cvt_f32_f16_e32 v5, v5
	v_cndmask_b32_e32 v2, v19, v20, vcc
	v_med3_f32 v19, v3, s22, v1
	v_cmp_nlg_f32_e64 vcc, |v3|, s21
	v_cvt_pk_fp8_f32 v13, v2, v2
	s_nop 0
	v_cndmask_b32_e32 v2, v19, v3, vcc
	v_med3_f32 v3, v21, s22, v1
	v_cmp_nlg_f32_e64 vcc, |v21|, s21
	v_cvt_pk_fp8_f32 v14, v2, v2
	s_nop 0
	;; [unrolled: 5-line block ×3, first 2 shown]
	v_cndmask_b32_e32 v2, v3, v4, vcc
	v_med3_f32 v3, v22, s22, v1
	v_cmp_nlg_f32_e64 vcc, |v22|, s21
	v_cvt_pk_fp8_f32 v16, v2, v2
	v_and_b32_e32 v4, 0xff, v11
	v_cndmask_b32_e32 v2, v3, v22, vcc
	v_med3_f32 v3, v5, s22, v1
	v_cmp_nlg_f32_e64 vcc, |v5|, s21
	v_cvt_pk_fp8_f32 v17, v2, v2
	v_lshlrev_b32_e32 v11, 8, v12
	v_cndmask_b32_e32 v2, v3, v5, vcc
	v_cvt_pk_fp8_f32 v18, v2, v2
	v_lshlrev_b32_e32 v3, 16, v13
	v_and_b32_e32 v5, 0xff00, v11
	v_perm_b32 v2, v14, v3, s23
	v_or3_b32 v2, v2, v5, v4
	v_and_b32_e32 v5, 0xff, v17
	v_lshlrev_b32_e32 v11, 24, v18
	v_lshlrev_b32_e32 v5, 16, v5
	v_and_b32_e32 v3, 0xff, v15
	v_lshlrev_b32_sdwa v4, v10, v16 dst_sel:DWORD dst_unused:UNUSED_PAD src0_sel:DWORD src1_sel:BYTE_0
	v_or_b32_e32 v5, v11, v5
	v_or3_b32 v3, v5, v4, v3
	global_store_dwordx2 v[6:7], v[2:3], off
	v_lshl_add_u64 v[6:7], v[6:7], 0, s[16:17]
	s_andn2_b64 exec, exec, s[18:19]
	s_cbranch_execnz .LBB11_70
.LBB11_71:
	s_endpgm
.LBB11_72:
                                        ; implicit-def: $sgpr36_sgpr37
	s_branch .LBB11_3
	.section	.rodata,"a",@progbits
	.p2align	6, 0x0
	.amdhsa_kernel _ZN4vllm30reshape_and_cache_flash_kernelIthLNS_18Fp8KVCacheDataTypeE1EEEvPKT_S4_PT0_S6_PKlllllliiiPKfSA_i
		.amdhsa_group_segment_fixed_size 0
		.amdhsa_private_segment_fixed_size 0
		.amdhsa_kernarg_size 376
		.amdhsa_user_sgpr_count 2
		.amdhsa_user_sgpr_dispatch_ptr 0
		.amdhsa_user_sgpr_queue_ptr 0
		.amdhsa_user_sgpr_kernarg_segment_ptr 1
		.amdhsa_user_sgpr_dispatch_id 0
		.amdhsa_user_sgpr_kernarg_preload_length 0
		.amdhsa_user_sgpr_kernarg_preload_offset 0
		.amdhsa_user_sgpr_private_segment_size 0
		.amdhsa_uses_dynamic_stack 0
		.amdhsa_enable_private_segment 0
		.amdhsa_system_sgpr_workgroup_id_x 1
		.amdhsa_system_sgpr_workgroup_id_y 0
		.amdhsa_system_sgpr_workgroup_id_z 0
		.amdhsa_system_sgpr_workgroup_info 0
		.amdhsa_system_vgpr_workitem_id 0
		.amdhsa_next_free_vgpr 61
		.amdhsa_next_free_sgpr 68
		.amdhsa_accum_offset 64
		.amdhsa_reserve_vcc 1
		.amdhsa_float_round_mode_32 0
		.amdhsa_float_round_mode_16_64 0
		.amdhsa_float_denorm_mode_32 3
		.amdhsa_float_denorm_mode_16_64 3
		.amdhsa_dx10_clamp 1
		.amdhsa_ieee_mode 1
		.amdhsa_fp16_overflow 0
		.amdhsa_tg_split 0
		.amdhsa_exception_fp_ieee_invalid_op 0
		.amdhsa_exception_fp_denorm_src 0
		.amdhsa_exception_fp_ieee_div_zero 0
		.amdhsa_exception_fp_ieee_overflow 0
		.amdhsa_exception_fp_ieee_underflow 0
		.amdhsa_exception_fp_ieee_inexact 0
		.amdhsa_exception_int_div_zero 0
	.end_amdhsa_kernel
	.section	.text._ZN4vllm30reshape_and_cache_flash_kernelIthLNS_18Fp8KVCacheDataTypeE1EEEvPKT_S4_PT0_S6_PKlllllliiiPKfSA_i,"axG",@progbits,_ZN4vllm30reshape_and_cache_flash_kernelIthLNS_18Fp8KVCacheDataTypeE1EEEvPKT_S4_PT0_S6_PKlllllliiiPKfSA_i,comdat
.Lfunc_end11:
	.size	_ZN4vllm30reshape_and_cache_flash_kernelIthLNS_18Fp8KVCacheDataTypeE1EEEvPKT_S4_PT0_S6_PKlllllliiiPKfSA_i, .Lfunc_end11-_ZN4vllm30reshape_and_cache_flash_kernelIthLNS_18Fp8KVCacheDataTypeE1EEEvPKT_S4_PT0_S6_PKlllllliiiPKfSA_i
                                        ; -- End function
	.section	.AMDGPU.csdata,"",@progbits
; Kernel info:
; codeLenInByte = 13660
; NumSgprs: 74
; NumVgprs: 61
; NumAgprs: 0
; TotalNumVgprs: 61
; ScratchSize: 0
; MemoryBound: 0
; FloatMode: 240
; IeeeMode: 1
; LDSByteSize: 0 bytes/workgroup (compile time only)
; SGPRBlocks: 9
; VGPRBlocks: 7
; NumSGPRsForWavesPerEU: 74
; NumVGPRsForWavesPerEU: 61
; AccumOffset: 64
; Occupancy: 8
; WaveLimiterHint : 0
; COMPUTE_PGM_RSRC2:SCRATCH_EN: 0
; COMPUTE_PGM_RSRC2:USER_SGPR: 2
; COMPUTE_PGM_RSRC2:TRAP_HANDLER: 0
; COMPUTE_PGM_RSRC2:TGID_X_EN: 1
; COMPUTE_PGM_RSRC2:TGID_Y_EN: 0
; COMPUTE_PGM_RSRC2:TGID_Z_EN: 0
; COMPUTE_PGM_RSRC2:TIDIG_COMP_CNT: 0
; COMPUTE_PGM_RSRC3_GFX90A:ACCUM_OFFSET: 15
; COMPUTE_PGM_RSRC3_GFX90A:TG_SPLIT: 0
	.section	.text._ZN4vllm30reshape_and_cache_flash_kernelI14__hip_bfloat16hLNS_18Fp8KVCacheDataTypeE1EEEvPKT_S5_PT0_S7_PKlllllliiiPKfSB_i,"axG",@progbits,_ZN4vllm30reshape_and_cache_flash_kernelI14__hip_bfloat16hLNS_18Fp8KVCacheDataTypeE1EEEvPKT_S5_PT0_S7_PKlllllliiiPKfSB_i,comdat
	.protected	_ZN4vllm30reshape_and_cache_flash_kernelI14__hip_bfloat16hLNS_18Fp8KVCacheDataTypeE1EEEvPKT_S5_PT0_S7_PKlllllliiiPKfSB_i ; -- Begin function _ZN4vllm30reshape_and_cache_flash_kernelI14__hip_bfloat16hLNS_18Fp8KVCacheDataTypeE1EEEvPKT_S5_PT0_S7_PKlllllliiiPKfSB_i
	.globl	_ZN4vllm30reshape_and_cache_flash_kernelI14__hip_bfloat16hLNS_18Fp8KVCacheDataTypeE1EEEvPKT_S5_PT0_S7_PKlllllliiiPKfSB_i
	.p2align	8
	.type	_ZN4vllm30reshape_and_cache_flash_kernelI14__hip_bfloat16hLNS_18Fp8KVCacheDataTypeE1EEEvPKT_S5_PT0_S7_PKlllllliiiPKfSB_i,@function
_ZN4vllm30reshape_and_cache_flash_kernelI14__hip_bfloat16hLNS_18Fp8KVCacheDataTypeE1EEEvPKT_S5_PT0_S7_PKlllllliiiPKfSB_i: ; @_ZN4vllm30reshape_and_cache_flash_kernelI14__hip_bfloat16hLNS_18Fp8KVCacheDataTypeE1EEEvPKT_S5_PT0_S7_PKlllllliiiPKfSB_i
; %bb.0:
	s_load_dwordx2 s[4:5], s[0:1], 0x20
	s_mov_b32 s3, 0
	s_lshl_b64 s[6:7], s[2:3], 3
	s_waitcnt lgkmcnt(0)
	s_add_u32 s4, s4, s6
	s_addc_u32 s5, s5, s7
	s_load_dwordx2 s[28:29], s[4:5], 0x0
	s_waitcnt lgkmcnt(0)
	v_cmp_lt_i64_e64 s[4:5], s[28:29], 0
	s_and_b64 vcc, exec, s[4:5]
	s_cbranch_vccnz .LBB12_71
; %bb.1:
	s_load_dwordx4 s[12:15], s[0:1], 0x50
	s_load_dwordx8 s[16:23], s[0:1], 0x0
	s_waitcnt lgkmcnt(0)
	s_ashr_i32 s15, s14, 31
	s_or_b64 s[4:5], s[28:29], s[14:15]
	s_mov_b32 s4, s3
	s_cmp_lg_u64 s[4:5], 0
	s_cbranch_scc0 .LBB12_72
; %bb.2:
	s_add_u32 s4, s14, s15
	s_mov_b32 s8, s15
	s_mov_b32 s9, s15
	s_addc_u32 s5, s15, s15
	s_xor_b64 s[10:11], s[4:5], s[8:9]
	v_cvt_f32_u32_e32 v1, s10
	v_cvt_f32_u32_e32 v2, s11
	s_sub_u32 s3, 0, s10
	s_subb_u32 s4, 0, s11
	v_fmamk_f32 v1, v2, 0x4f800000, v1
	v_rcp_f32_e32 v1, v1
	s_nop 0
	v_mul_f32_e32 v1, 0x5f7ffffc, v1
	v_mul_f32_e32 v2, 0x2f800000, v1
	v_trunc_f32_e32 v2, v2
	v_fmamk_f32 v1, v2, 0xcf800000, v1
	v_cvt_u32_f32_e32 v2, v2
	v_cvt_u32_f32_e32 v1, v1
	v_readfirstlane_b32 s5, v2
	v_readfirstlane_b32 s24, v1
	s_mul_i32 s25, s3, s5
	s_mul_hi_u32 s27, s3, s24
	s_mul_i32 s26, s4, s24
	s_add_i32 s25, s27, s25
	s_add_i32 s25, s25, s26
	s_mul_i32 s30, s3, s24
	s_mul_hi_u32 s26, s24, s25
	s_mul_i32 s27, s24, s25
	s_mul_hi_u32 s24, s24, s30
	s_add_u32 s24, s24, s27
	s_addc_u32 s26, 0, s26
	s_mul_hi_u32 s31, s5, s30
	s_mul_i32 s30, s5, s30
	s_add_u32 s24, s24, s30
	s_mul_hi_u32 s27, s5, s25
	s_addc_u32 s24, s26, s31
	s_addc_u32 s26, s27, 0
	s_mul_i32 s25, s5, s25
	s_add_u32 s24, s24, s25
	s_addc_u32 s25, 0, s26
	v_add_co_u32_e32 v1, vcc, s24, v1
	s_cmp_lg_u64 vcc, 0
	s_addc_u32 s5, s5, s25
	v_readfirstlane_b32 s25, v1
	s_mul_i32 s24, s3, s5
	s_mul_hi_u32 s26, s3, s25
	s_add_i32 s24, s26, s24
	s_mul_i32 s4, s4, s25
	s_add_i32 s24, s24, s4
	s_mul_i32 s3, s3, s25
	s_mul_hi_u32 s26, s5, s3
	s_mul_i32 s27, s5, s3
	s_mul_i32 s31, s25, s24
	s_mul_hi_u32 s3, s25, s3
	s_mul_hi_u32 s30, s25, s24
	s_add_u32 s3, s3, s31
	s_addc_u32 s25, 0, s30
	s_add_u32 s3, s3, s27
	s_mul_hi_u32 s4, s5, s24
	s_addc_u32 s3, s25, s26
	s_addc_u32 s4, s4, 0
	s_mul_i32 s24, s5, s24
	s_add_u32 s3, s3, s24
	s_addc_u32 s4, 0, s4
	v_add_co_u32_e32 v1, vcc, s3, v1
	s_cmp_lg_u64 vcc, 0
	s_addc_u32 s3, s5, s4
	s_ashr_i32 s24, s29, 31
	s_add_u32 s4, s28, s24
	s_mov_b32 s25, s24
	s_addc_u32 s5, s29, s24
	s_xor_b64 s[26:27], s[4:5], s[24:25]
	v_readfirstlane_b32 s30, v1
	s_mul_i32 s5, s26, s3
	s_mul_hi_u32 s31, s26, s30
	s_mul_hi_u32 s4, s26, s3
	s_add_u32 s5, s31, s5
	s_addc_u32 s4, 0, s4
	s_mul_hi_u32 s33, s27, s30
	s_mul_i32 s30, s27, s30
	s_add_u32 s5, s5, s30
	s_mul_hi_u32 s31, s27, s3
	s_addc_u32 s4, s4, s33
	s_addc_u32 s5, s31, 0
	s_mul_i32 s3, s27, s3
	s_add_u32 s3, s4, s3
	s_addc_u32 s30, 0, s5
	s_mul_i32 s4, s10, s30
	s_mul_hi_u32 s5, s10, s3
	s_add_i32 s4, s5, s4
	s_mul_i32 s5, s11, s3
	s_add_i32 s31, s4, s5
	s_mul_i32 s5, s10, s3
	v_mov_b32_e32 v1, s5
	s_sub_i32 s4, s27, s31
	v_sub_co_u32_e32 v1, vcc, s26, v1
	s_cmp_lg_u64 vcc, 0
	s_subb_u32 s26, s4, s11
	v_subrev_co_u32_e64 v2, s[4:5], s10, v1
	s_cmp_lg_u64 s[4:5], 0
	s_subb_u32 s4, s26, 0
	s_cmp_ge_u32 s4, s11
	v_readfirstlane_b32 s26, v2
	s_cselect_b32 s5, -1, 0
	s_cmp_ge_u32 s26, s10
	s_cselect_b32 s26, -1, 0
	s_cmp_eq_u32 s4, s11
	s_cselect_b32 s4, s26, s5
	s_add_u32 s5, s3, 1
	s_addc_u32 s26, s30, 0
	s_add_u32 s33, s3, 2
	s_addc_u32 s34, s30, 0
	s_cmp_lg_u32 s4, 0
	s_cselect_b32 s4, s33, s5
	s_cselect_b32 s5, s34, s26
	s_cmp_lg_u64 vcc, 0
	s_subb_u32 s26, s27, s31
	s_cmp_ge_u32 s26, s11
	v_readfirstlane_b32 s31, v1
	s_cselect_b32 s27, -1, 0
	s_cmp_ge_u32 s31, s10
	s_cselect_b32 s10, -1, 0
	s_cmp_eq_u32 s26, s11
	s_cselect_b32 s10, s10, s27
	s_cmp_lg_u32 s10, 0
	s_cselect_b32 s5, s5, s30
	s_cselect_b32 s4, s4, s3
	s_xor_b64 s[8:9], s[24:25], s[8:9]
	s_xor_b64 s[4:5], s[4:5], s[8:9]
	s_sub_u32 s36, s4, s8
	s_subb_u32 s37, s5, s9
	s_cbranch_execnz .LBB12_4
.LBB12_3:
	v_cvt_f32_u32_e32 v1, s14
	s_sub_i32 s3, 0, s14
	s_mov_b32 s37, 0
	v_rcp_iflag_f32_e32 v1, v1
	s_nop 0
	v_mul_f32_e32 v1, 0x4f7ffffe, v1
	v_cvt_u32_f32_e32 v1, v1
	s_nop 0
	v_readfirstlane_b32 s4, v1
	s_mul_i32 s3, s3, s4
	s_mul_hi_u32 s3, s4, s3
	s_add_i32 s4, s4, s3
	s_mul_hi_u32 s3, s28, s4
	s_mul_i32 s5, s3, s14
	s_sub_i32 s5, s28, s5
	s_add_i32 s4, s3, 1
	s_sub_i32 s6, s5, s14
	s_cmp_ge_u32 s5, s14
	s_cselect_b32 s3, s4, s3
	s_cselect_b32 s5, s6, s5
	s_add_i32 s4, s3, 1
	s_cmp_ge_u32 s5, s14
	s_cselect_b32 s36, s4, s3
.LBB12_4:
	s_mul_i32 s3, s36, s15
	s_mul_hi_u32 s15, s36, s14
	s_add_i32 s3, s15, s3
	s_mul_i32 s15, s37, s14
	s_load_dwordx8 s[4:11], s[0:1], 0x28
	s_load_dwordx2 s[30:31], s[0:1], 0x48
	s_load_dwordx4 s[24:27], s[0:1], 0x60
	s_load_dword s59, s[0:1], 0x70
	s_add_i32 s3, s3, s15
	s_mul_i32 s14, s36, s14
	s_sub_u32 s28, s28, s14
	s_subb_u32 s29, s29, s3
	s_waitcnt lgkmcnt(0)
	s_mul_i32 s3, s2, s11
	s_mul_hi_u32 s11, s2, s10
	s_add_i32 s11, s11, s3
	s_mul_i32 s10, s2, s10
	s_lshl_b64 s[34:35], s[10:11], 1
	s_add_u32 s10, s16, s34
	s_mul_i32 s3, s2, s31
	s_mul_hi_u32 s14, s2, s30
	s_addc_u32 s11, s17, s35
	s_add_i32 s3, s14, s3
	s_mul_i32 s2, s2, s30
	s_lshl_b64 s[14:15], s[2:3], 1
	s_add_u32 s30, s18, s14
	s_mul_i32 s2, s36, s5
	s_mul_hi_u32 s3, s36, s4
	s_addc_u32 s31, s19, s15
	s_add_i32 s2, s3, s2
	s_mul_i32 s3, s37, s4
	s_add_i32 s33, s2, s3
	s_mul_i32 s56, s36, s4
	s_add_u32 s2, s20, s56
	s_mul_i32 s4, s28, s7
	s_mul_hi_u32 s5, s28, s6
	s_addc_u32 s3, s21, s33
	s_add_i32 s4, s5, s4
	s_mul_i32 s29, s29, s6
	s_add_i32 s57, s4, s29
	s_mul_i32 s58, s28, s6
	s_add_u32 s4, s2, s58
	s_addc_u32 s5, s3, s57
	s_add_u32 s2, s22, s56
	s_addc_u32 s3, s23, s33
	;; [unrolled: 2-line block ×3, first 2 shown]
	s_ashr_i32 s3, s13, 31
	s_mov_b32 s2, s13
	s_cmp_lg_u64 s[2:3], s[8:9]
	s_cselect_b64 s[2:3], -1, 0
	s_cmp_lg_u32 s59, 0
	s_cselect_b64 s[6:7], -1, 0
	s_or_b64 s[6:7], s[2:3], s[6:7]
	s_mov_b64 s[2:3], -1
	s_and_b64 vcc, exec, s[6:7]
	s_cbranch_vccz .LBB12_39
; %bb.5:
	v_lshrrev_b32_e32 v1, 5, v0
	v_cmp_gt_i32_e32 vcc, s12, v1
	s_and_saveexec_b64 s[6:7], vcc
	s_cbranch_execz .LBB12_38
; %bb.6:
	s_load_dword s2, s[0:1], 0x84
	s_and_b32 s3, s13, 7
	v_and_b32_e32 v6, 31, v0
	v_mov_b32_e32 v9, 0
	v_lshlrev_b32_e32 v8, 3, v6
	s_waitcnt lgkmcnt(0)
	s_bfe_u32 s60, s2, 0xb0005
	s_cmp_eq_u32 s3, 0
	s_cselect_b64 s[44:45], -1, 0
	s_ashr_i32 s61, s13, 3
	s_add_u32 s36, s58, s56
	s_addc_u32 s37, s57, s33
	v_mov_b64_e32 v[2:3], s[36:37]
	v_mad_u64_u32 v[2:3], s[36:37], s8, v1, v[2:3]
	v_mov_b32_e32 v4, v3
	v_mad_u64_u32 v[4:5], s[36:37], s9, v1, v[4:5]
	s_mul_i32 s36, s9, s60
	s_mul_hi_u32 s37, s8, s60
	s_add_i32 s37, s37, s36
	s_add_u32 s38, s16, s34
	s_addc_u32 s39, s17, s35
	v_mov_b32_e32 v3, v4
	s_add_u32 s40, s18, s14
	v_lshl_add_u64 v[4:5], v[2:3], 0, v[8:9]
	v_lshlrev_b32_e32 v8, 4, v6
	s_addc_u32 s41, s19, s15
	v_cmp_gt_i32_e64 s[2:3], s61, v6
	v_mov_b32_e32 v7, v9
	v_lshl_add_u64 v[10:11], s[20:21], 0, v[4:5]
	s_mul_i32 s36, s8, s60
	v_lshl_add_u64 v[12:13], s[38:39], 0, v[8:9]
	v_mul_lo_u32 v14, s13, v1
	s_mul_i32 s62, s13, s60
	v_lshl_add_u64 v[16:17], s[20:21], 0, v[2:3]
	v_lshl_add_u64 v[18:19], s[22:23], 0, v[4:5]
	;; [unrolled: 1-line block ×4, first 2 shown]
	s_mov_b64 s[42:43], 0
	s_xor_b64 s[44:45], s[44:45], -1
	s_mov_b32 s63, 0x7f800000
	s_mov_b32 s64, 0x43700000
	;; [unrolled: 1-line block ×3, first 2 shown]
	s_mov_b64 s[46:47], 0x100
	s_mov_b64 s[48:49], 0x200
	v_mov_b32_e32 v38, 0xc3700000
	v_mov_b32_e32 v39, 8
	s_branch .LBB12_9
.LBB12_7:                               ;   in Loop: Header=BB12_9 Depth=1
	s_or_b64 exec, exec, s[52:53]
.LBB12_8:                               ;   in Loop: Header=BB12_9 Depth=1
	s_or_b64 exec, exec, s[50:51]
	v_add_u32_e32 v1, s60, v1
	v_cmp_le_i32_e32 vcc, s12, v1
	v_lshl_add_u64 v[10:11], v[10:11], 0, s[36:37]
	v_add_u32_e32 v14, s62, v14
	v_lshl_add_u64 v[16:17], v[16:17], 0, s[36:37]
	v_lshl_add_u64 v[18:19], v[18:19], 0, s[36:37]
	s_or_b64 s[42:43], vcc, s[42:43]
	v_lshl_add_u64 v[22:23], v[22:23], 0, s[36:37]
	s_andn2_b64 exec, exec, s[42:43]
	s_cbranch_execz .LBB12_38
.LBB12_9:                               ; =>This Loop Header: Depth=1
                                        ;     Child Loop BB12_14 Depth 2
                                        ;     Child Loop BB12_17 Depth 2
	;; [unrolled: 1-line block ×6, first 2 shown]
	v_mul_lo_u32 v2, v1, s59
	v_ashrrev_i32_e32 v3, 31, v2
	v_lshlrev_b64 v[2:3], 2, v[2:3]
	v_lshl_add_u64 v[4:5], s[24:25], 0, v[2:3]
	v_lshl_add_u64 v[2:3], s[26:27], 0, v[2:3]
	global_load_dword v41, v[4:5], off
	global_load_dword v40, v[2:3], off
	v_mul_lo_u32 v28, v1, s13
	v_ashrrev_i32_e32 v29, 31, v28
	v_lshl_add_u64 v[2:3], v[28:29], 1, s[10:11]
	v_mad_u64_u32 v[26:27], s[50:51], v1, s8, 0
	v_mov_b32_e32 v4, v27
	v_and_b32_e32 v8, 15, v2
	v_ashrrev_i32_e32 v15, 31, v14
	v_mad_u64_u32 v[4:5], s[50:51], v1, s9, v[4:5]
	v_cmp_ne_u64_e32 vcc, 0, v[8:9]
	v_lshlrev_b64 v[24:25], 1, v[14:15]
	v_mov_b32_e32 v27, v4
	s_or_b64 s[50:51], s[44:45], vcc
	s_and_saveexec_b64 s[52:53], s[50:51]
	s_xor_b64 s[50:51], exec, s[52:53]
	s_cbranch_execz .LBB12_19
; %bb.10:                               ;   in Loop: Header=BB12_9 Depth=1
	v_sub_u32_e32 v4, 0, v2
	v_bfe_u32 v4, v4, 1, 3
	v_min_i32_e32 v30, s13, v4
	v_cmp_gt_i32_e32 vcc, v30, v6
	s_and_saveexec_b64 s[52:53], vcc
	s_cbranch_execz .LBB12_12
; %bb.11:                               ;   in Loop: Header=BB12_9 Depth=1
	v_lshlrev_b32_e32 v8, 1, v6
	v_lshl_add_u64 v[2:3], v[2:3], 0, v[8:9]
	global_load_ushort v2, v[2:3], off
	s_waitcnt vmcnt(0)
	v_lshlrev_b32_e32 v2, 16, v2
	v_div_scale_f32 v3, s[54:55], v41, v41, v2
	v_rcp_f32_e32 v4, v3
	v_div_scale_f32 v5, vcc, v2, v41, v2
	v_fma_f32 v8, -v3, v4, 1.0
	v_fmac_f32_e32 v4, v8, v4
	v_mul_f32_e32 v8, v5, v4
	v_fma_f32 v15, -v3, v8, v5
	v_fmac_f32_e32 v8, v15, v4
	v_fma_f32 v3, -v3, v8, v5
	v_div_fmas_f32 v3, v3, v4, v8
	v_div_fixup_f32 v2, v3, v41, v2
	v_med3_f32 v3, v2, s64, v38
	v_cmp_nlg_f32_e64 vcc, |v2|, s63
	v_mov_b32_e32 v4, v9
	s_nop 0
	v_cndmask_b32_e32 v2, v3, v2, vcc
	v_cvt_pk_fp8_f32 v4, v2, v2
	v_lshl_add_u64 v[2:3], s[4:5], 0, v[26:27]
	v_lshl_add_u64 v[2:3], v[2:3], 0, v[6:7]
	global_store_byte v[2:3], v4, off
.LBB12_12:                              ;   in Loop: Header=BB12_9 Depth=1
	s_or_b64 exec, exec, s[52:53]
	v_sub_u32_e32 v8, s13, v30
	v_ashrrev_i32_e32 v2, 31, v8
	v_lshrrev_b32_e32 v2, 29, v2
	v_add_u32_e32 v2, v8, v2
	v_ashrrev_i32_e32 v31, 31, v30
	v_ashrrev_i32_e32 v15, 3, v2
	v_cmp_gt_i32_e32 vcc, v15, v6
	v_lshl_add_u64 v[32:33], v[30:31], 1, v[24:25]
	s_and_saveexec_b64 s[52:53], vcc
	s_cbranch_execz .LBB12_15
; %bb.13:                               ;   in Loop: Header=BB12_9 Depth=1
	v_lshl_add_u64 v[34:35], v[10:11], 0, v[30:31]
	v_lshl_add_u64 v[36:37], v[12:13], 0, v[32:33]
	s_mov_b64 s[54:55], 0
	v_mov_b32_e32 v42, v6
.LBB12_14:                              ;   Parent Loop BB12_9 Depth=1
                                        ; =>  This Inner Loop Header: Depth=2
	global_load_dwordx4 v[2:5], v[36:37], off
	v_add_u32_e32 v42, 32, v42
	v_lshl_add_u64 v[36:37], v[36:37], 0, s[48:49]
	s_waitcnt vmcnt(0)
	v_lshlrev_b32_e32 v43, 16, v2
	v_div_scale_f32 v44, s[66:67], v41, v41, v43
	v_rcp_f32_e32 v45, v44
	v_and_b32_e32 v2, 0xffff0000, v2
	v_fma_f32 v46, -v44, v45, 1.0
	v_fmac_f32_e32 v45, v46, v45
	v_div_scale_f32 v46, vcc, v43, v41, v43
	v_mul_f32_e32 v47, v46, v45
	v_fma_f32 v48, -v44, v47, v46
	v_fmac_f32_e32 v47, v48, v45
	v_fma_f32 v44, -v44, v47, v46
	v_div_fmas_f32 v44, v44, v45, v47
	v_div_fixup_f32 v43, v44, v41, v43
	v_cmp_nlg_f32_e64 vcc, |v43|, s63
	v_med3_f32 v44, v43, s64, v38
	s_nop 0
	v_cndmask_b32_e32 v44, v44, v43, vcc
	v_mov_b32_e32 v43, 0
	v_cvt_pk_fp8_f32 v43, v44, v44
	v_div_scale_f32 v44, s[66:67], v41, v41, v2
	v_rcp_f32_e32 v45, v44
	s_nop 0
	v_fma_f32 v46, -v44, v45, 1.0
	v_fmac_f32_e32 v45, v46, v45
	v_div_scale_f32 v46, vcc, v2, v41, v2
	v_mul_f32_e32 v47, v46, v45
	v_fma_f32 v48, -v44, v47, v46
	v_fmac_f32_e32 v47, v48, v45
	v_fma_f32 v44, -v44, v47, v46
	v_div_fmas_f32 v44, v44, v45, v47
	v_div_fixup_f32 v2, v44, v41, v2
	v_cmp_nlg_f32_e64 vcc, |v2|, s63
	v_med3_f32 v44, v2, s64, v38
	s_nop 0
	v_cndmask_b32_e32 v2, v44, v2, vcc
	v_mov_b32_e32 v44, 0
	v_cvt_pk_fp8_f32 v44, v2, v2
	v_lshlrev_b32_e32 v2, 16, v3
	v_div_scale_f32 v45, s[66:67], v41, v41, v2
	v_rcp_f32_e32 v46, v45
	s_nop 0
	v_fma_f32 v47, -v45, v46, 1.0
	v_fmac_f32_e32 v46, v47, v46
	v_div_scale_f32 v47, vcc, v2, v41, v2
	v_mul_f32_e32 v48, v47, v46
	v_fma_f32 v49, -v45, v48, v47
	v_fmac_f32_e32 v48, v49, v46
	v_fma_f32 v45, -v45, v48, v47
	v_div_fmas_f32 v45, v45, v46, v48
	v_div_fixup_f32 v2, v45, v41, v2
	v_cmp_nlg_f32_e64 vcc, |v2|, s63
	v_med3_f32 v45, v2, s64, v38
	s_nop 0
	v_cndmask_b32_e32 v2, v45, v2, vcc
	v_mov_b32_e32 v45, 0
	v_cvt_pk_fp8_f32 v45, v2, v2
	v_and_b32_e32 v2, 0xffff0000, v3
	v_div_scale_f32 v3, s[66:67], v41, v41, v2
	v_rcp_f32_e32 v46, v3
	s_nop 0
	v_fma_f32 v47, -v3, v46, 1.0
	v_fmac_f32_e32 v46, v47, v46
	v_div_scale_f32 v47, vcc, v2, v41, v2
	v_mul_f32_e32 v48, v47, v46
	v_fma_f32 v49, -v3, v48, v47
	v_fmac_f32_e32 v48, v49, v46
	v_fma_f32 v3, -v3, v48, v47
	v_div_fmas_f32 v3, v3, v46, v48
	v_div_fixup_f32 v2, v3, v41, v2
	v_cmp_nlg_f32_e64 vcc, |v2|, s63
	v_med3_f32 v3, v2, s64, v38
	v_mov_b32_e32 v46, 0
	v_cndmask_b32_e32 v2, v3, v2, vcc
	v_cvt_pk_fp8_f32 v46, v2, v2
	v_lshlrev_b32_e32 v2, 16, v4
	v_div_scale_f32 v3, s[66:67], v41, v41, v2
	v_rcp_f32_e32 v47, v3
	s_nop 0
	v_fma_f32 v48, -v3, v47, 1.0
	v_fmac_f32_e32 v47, v48, v47
	v_div_scale_f32 v48, vcc, v2, v41, v2
	v_mul_f32_e32 v49, v48, v47
	v_fma_f32 v50, -v3, v49, v48
	v_fmac_f32_e32 v49, v50, v47
	v_fma_f32 v3, -v3, v49, v48
	v_div_fmas_f32 v3, v3, v47, v49
	v_div_fixup_f32 v2, v3, v41, v2
	v_cmp_nlg_f32_e64 vcc, |v2|, s63
	v_med3_f32 v3, v2, s64, v38
	s_nop 0
	v_cndmask_b32_e32 v2, v3, v2, vcc
	v_mov_b32_e32 v3, 0
	v_cvt_pk_fp8_f32 v3, v2, v2
	v_and_b32_e32 v2, 0xffff0000, v4
	v_div_scale_f32 v4, s[66:67], v41, v41, v2
	v_rcp_f32_e32 v47, v4
	v_and_b32_e32 v3, 0xff, v3
	v_fma_f32 v48, -v4, v47, 1.0
	v_fmac_f32_e32 v47, v48, v47
	v_div_scale_f32 v48, vcc, v2, v41, v2
	v_mul_f32_e32 v49, v48, v47
	v_fma_f32 v50, -v4, v49, v48
	v_fmac_f32_e32 v49, v50, v47
	v_fma_f32 v4, -v4, v49, v48
	v_div_fmas_f32 v4, v4, v47, v49
	v_div_fixup_f32 v2, v4, v41, v2
	v_cmp_nlg_f32_e64 vcc, |v2|, s63
	v_med3_f32 v4, v2, s64, v38
	s_nop 0
	v_cndmask_b32_e32 v2, v4, v2, vcc
	v_mov_b32_e32 v4, 0
	v_cvt_pk_fp8_f32 v4, v2, v2
	v_lshlrev_b32_e32 v2, 16, v5
	v_div_scale_f32 v47, s[66:67], v41, v41, v2
	v_rcp_f32_e32 v48, v47
	v_lshlrev_b32_sdwa v4, v39, v4 dst_sel:DWORD dst_unused:UNUSED_PAD src0_sel:DWORD src1_sel:BYTE_0
	v_fma_f32 v49, -v47, v48, 1.0
	v_fmac_f32_e32 v48, v49, v48
	v_div_scale_f32 v49, vcc, v2, v41, v2
	v_mul_f32_e32 v50, v49, v48
	v_fma_f32 v51, -v47, v50, v49
	v_fmac_f32_e32 v50, v51, v48
	v_fma_f32 v47, -v47, v50, v49
	v_div_fmas_f32 v47, v47, v48, v50
	v_div_fixup_f32 v2, v47, v41, v2
	v_cmp_nlg_f32_e64 vcc, |v2|, s63
	v_med3_f32 v47, v2, s64, v38
	s_nop 0
	v_cndmask_b32_e32 v2, v47, v2, vcc
	v_mov_b32_e32 v47, 0
	v_cvt_pk_fp8_f32 v47, v2, v2
	v_and_b32_e32 v2, 0xffff0000, v5
	v_div_scale_f32 v5, s[66:67], v41, v41, v2
	v_rcp_f32_e32 v48, v5
	s_nop 0
	v_fma_f32 v49, -v5, v48, 1.0
	v_fmac_f32_e32 v48, v49, v48
	v_div_scale_f32 v49, vcc, v2, v41, v2
	v_mul_f32_e32 v50, v49, v48
	v_fma_f32 v51, -v5, v50, v49
	v_fmac_f32_e32 v50, v51, v48
	v_fma_f32 v5, -v5, v50, v49
	v_div_fmas_f32 v5, v5, v48, v50
	v_div_fixup_f32 v2, v5, v41, v2
	v_cmp_nlg_f32_e64 vcc, |v2|, s63
	v_med3_f32 v5, v2, s64, v38
	s_nop 0
	v_cndmask_b32_e32 v2, v5, v2, vcc
	v_mov_b32_e32 v5, 0
	v_cvt_pk_fp8_f32 v5, v2, v2
	v_cmp_ge_i32_e32 vcc, v42, v15
	s_or_b64 s[54:55], vcc, s[54:55]
	v_lshlrev_b32_e32 v2, 24, v5
	v_and_b32_e32 v5, 0xff, v47
	v_lshlrev_b32_e32 v5, 16, v5
	v_or_b32_e32 v2, v2, v5
	v_or3_b32 v3, v2, v4, v3
	v_lshlrev_b32_e32 v2, 16, v45
	v_lshlrev_b32_e32 v4, 8, v44
	v_perm_b32 v2, v46, v2, s65
	v_and_b32_e32 v5, 0xff, v43
	v_and_b32_e32 v4, 0xff00, v4
	v_or3_b32 v2, v2, v4, v5
	global_store_dwordx2 v[34:35], v[2:3], off
	v_lshl_add_u64 v[34:35], v[34:35], 0, s[46:47]
	s_andn2_b64 exec, exec, s[54:55]
	s_cbranch_execnz .LBB12_14
.LBB12_15:                              ;   in Loop: Header=BB12_9 Depth=1
	s_or_b64 exec, exec, s[52:53]
	v_lshl_add_u32 v2, v15, 3, v6
	v_cmp_lt_i32_e32 vcc, v2, v8
	s_and_saveexec_b64 s[52:53], vcc
	s_cbranch_execz .LBB12_18
; %bb.16:                               ;   in Loop: Header=BB12_9 Depth=1
	v_ashrrev_i32_e32 v3, 31, v2
	v_lshl_add_u64 v[4:5], v[2:3], 1, v[32:33]
	v_lshl_add_u64 v[30:31], v[30:31], 0, v[2:3]
	;; [unrolled: 1-line block ×4, first 2 shown]
	s_mov_b64 s[54:55], 0
.LBB12_17:                              ;   Parent Loop BB12_9 Depth=1
                                        ; =>  This Inner Loop Header: Depth=2
	global_load_ushort v3, v[4:5], off
	v_mov_b32_e32 v15, 0
	v_add_u32_e32 v2, 32, v2
	v_lshl_add_u64 v[4:5], v[4:5], 0, 64
	s_waitcnt vmcnt(0)
	v_lshlrev_b32_e32 v3, 16, v3
	v_div_scale_f32 v32, s[66:67], v41, v41, v3
	v_rcp_f32_e32 v34, v32
	v_div_scale_f32 v33, vcc, v3, v41, v3
	v_fma_f32 v35, -v32, v34, 1.0
	v_fmac_f32_e32 v34, v35, v34
	v_mul_f32_e32 v35, v33, v34
	v_fma_f32 v36, -v32, v35, v33
	v_fmac_f32_e32 v35, v36, v34
	v_fma_f32 v32, -v32, v35, v33
	v_div_fmas_f32 v32, v32, v34, v35
	v_div_fixup_f32 v3, v32, v41, v3
	v_med3_f32 v32, v3, s64, v38
	v_cmp_nlg_f32_e64 vcc, |v3|, s63
	s_nop 1
	v_cndmask_b32_e32 v3, v32, v3, vcc
	v_cvt_pk_fp8_f32 v15, v3, v3
	v_cmp_ge_i32_e32 vcc, v2, v8
	s_or_b64 s[54:55], vcc, s[54:55]
	global_store_byte v[30:31], v15, off
	v_lshl_add_u64 v[30:31], v[30:31], 0, 32
	s_andn2_b64 exec, exec, s[54:55]
	s_cbranch_execnz .LBB12_17
.LBB12_18:                              ;   in Loop: Header=BB12_9 Depth=1
	s_or_b64 exec, exec, s[52:53]
                                        ; implicit-def: $vgpr41
.LBB12_19:                              ;   in Loop: Header=BB12_9 Depth=1
	s_andn2_saveexec_b64 s[50:51], s[50:51]
	s_cbranch_execz .LBB12_24
; %bb.20:                               ;   in Loop: Header=BB12_9 Depth=1
	s_and_saveexec_b64 s[52:53], s[2:3]
	s_cbranch_execz .LBB12_23
; %bb.21:                               ;   in Loop: Header=BB12_9 Depth=1
	v_lshl_add_u64 v[30:31], v[12:13], 0, v[24:25]
	s_mov_b64 s[54:55], 0
	v_mov_b64_e32 v[32:33], v[10:11]
	v_mov_b32_e32 v8, v6
.LBB12_22:                              ;   Parent Loop BB12_9 Depth=1
                                        ; =>  This Inner Loop Header: Depth=2
	global_load_dwordx4 v[2:5], v[30:31], off
	v_add_u32_e32 v8, 32, v8
	v_lshl_add_u64 v[30:31], v[30:31], 0, s[48:49]
	s_waitcnt vmcnt(0)
	v_lshlrev_b32_e32 v15, 16, v2
	v_div_scale_f32 v34, s[66:67], v41, v41, v15
	v_rcp_f32_e32 v35, v34
	v_and_b32_e32 v2, 0xffff0000, v2
	v_fma_f32 v36, -v34, v35, 1.0
	v_fmac_f32_e32 v35, v36, v35
	v_div_scale_f32 v36, vcc, v15, v41, v15
	v_mul_f32_e32 v37, v36, v35
	v_fma_f32 v42, -v34, v37, v36
	v_fmac_f32_e32 v37, v42, v35
	v_fma_f32 v34, -v34, v37, v36
	v_div_fmas_f32 v34, v34, v35, v37
	v_div_fixup_f32 v15, v34, v41, v15
	v_cmp_nlg_f32_e64 vcc, |v15|, s63
	v_med3_f32 v34, v15, s64, v38
	s_nop 0
	v_cndmask_b32_e32 v34, v34, v15, vcc
	v_mov_b32_e32 v15, 0
	v_cvt_pk_fp8_f32 v15, v34, v34
	v_div_scale_f32 v34, s[66:67], v41, v41, v2
	v_rcp_f32_e32 v35, v34
	s_nop 0
	v_fma_f32 v36, -v34, v35, 1.0
	v_fmac_f32_e32 v35, v36, v35
	v_div_scale_f32 v36, vcc, v2, v41, v2
	v_mul_f32_e32 v37, v36, v35
	v_fma_f32 v42, -v34, v37, v36
	v_fmac_f32_e32 v37, v42, v35
	v_fma_f32 v34, -v34, v37, v36
	v_div_fmas_f32 v34, v34, v35, v37
	v_div_fixup_f32 v2, v34, v41, v2
	v_cmp_nlg_f32_e64 vcc, |v2|, s63
	v_med3_f32 v34, v2, s64, v38
	s_nop 0
	v_cndmask_b32_e32 v2, v34, v2, vcc
	v_mov_b32_e32 v34, 0
	v_cvt_pk_fp8_f32 v34, v2, v2
	v_lshlrev_b32_e32 v2, 16, v3
	v_div_scale_f32 v35, s[66:67], v41, v41, v2
	v_rcp_f32_e32 v36, v35
	s_nop 0
	v_fma_f32 v37, -v35, v36, 1.0
	v_fmac_f32_e32 v36, v37, v36
	v_div_scale_f32 v37, vcc, v2, v41, v2
	v_mul_f32_e32 v42, v37, v36
	v_fma_f32 v43, -v35, v42, v37
	v_fmac_f32_e32 v42, v43, v36
	v_fma_f32 v35, -v35, v42, v37
	v_div_fmas_f32 v35, v35, v36, v42
	v_div_fixup_f32 v2, v35, v41, v2
	v_cmp_nlg_f32_e64 vcc, |v2|, s63
	v_med3_f32 v35, v2, s64, v38
	s_nop 0
	v_cndmask_b32_e32 v2, v35, v2, vcc
	v_mov_b32_e32 v35, 0
	v_cvt_pk_fp8_f32 v35, v2, v2
	v_and_b32_e32 v2, 0xffff0000, v3
	v_div_scale_f32 v3, s[66:67], v41, v41, v2
	v_rcp_f32_e32 v36, v3
	s_nop 0
	v_fma_f32 v37, -v3, v36, 1.0
	v_fmac_f32_e32 v36, v37, v36
	v_div_scale_f32 v37, vcc, v2, v41, v2
	v_mul_f32_e32 v42, v37, v36
	v_fma_f32 v43, -v3, v42, v37
	v_fmac_f32_e32 v42, v43, v36
	v_fma_f32 v3, -v3, v42, v37
	v_div_fmas_f32 v3, v3, v36, v42
	v_div_fixup_f32 v2, v3, v41, v2
	v_cmp_nlg_f32_e64 vcc, |v2|, s63
	v_med3_f32 v3, v2, s64, v38
	v_mov_b32_e32 v36, 0
	v_cndmask_b32_e32 v2, v3, v2, vcc
	v_cvt_pk_fp8_f32 v36, v2, v2
	v_lshlrev_b32_e32 v2, 16, v4
	v_div_scale_f32 v3, s[66:67], v41, v41, v2
	v_rcp_f32_e32 v37, v3
	s_nop 0
	v_fma_f32 v42, -v3, v37, 1.0
	v_fmac_f32_e32 v37, v42, v37
	v_div_scale_f32 v42, vcc, v2, v41, v2
	v_mul_f32_e32 v43, v42, v37
	v_fma_f32 v44, -v3, v43, v42
	v_fmac_f32_e32 v43, v44, v37
	v_fma_f32 v3, -v3, v43, v42
	v_div_fmas_f32 v3, v3, v37, v43
	v_div_fixup_f32 v2, v3, v41, v2
	v_cmp_nlg_f32_e64 vcc, |v2|, s63
	v_med3_f32 v3, v2, s64, v38
	s_nop 0
	v_cndmask_b32_e32 v2, v3, v2, vcc
	v_mov_b32_e32 v3, 0
	v_cvt_pk_fp8_f32 v3, v2, v2
	v_and_b32_e32 v2, 0xffff0000, v4
	v_div_scale_f32 v4, s[66:67], v41, v41, v2
	v_rcp_f32_e32 v37, v4
	v_and_b32_e32 v3, 0xff, v3
	v_fma_f32 v42, -v4, v37, 1.0
	v_fmac_f32_e32 v37, v42, v37
	v_div_scale_f32 v42, vcc, v2, v41, v2
	v_mul_f32_e32 v43, v42, v37
	v_fma_f32 v44, -v4, v43, v42
	v_fmac_f32_e32 v43, v44, v37
	v_fma_f32 v4, -v4, v43, v42
	v_div_fmas_f32 v4, v4, v37, v43
	v_div_fixup_f32 v2, v4, v41, v2
	v_cmp_nlg_f32_e64 vcc, |v2|, s63
	v_med3_f32 v4, v2, s64, v38
	s_nop 0
	v_cndmask_b32_e32 v2, v4, v2, vcc
	v_mov_b32_e32 v4, 0
	v_cvt_pk_fp8_f32 v4, v2, v2
	v_lshlrev_b32_e32 v2, 16, v5
	v_div_scale_f32 v37, s[66:67], v41, v41, v2
	v_rcp_f32_e32 v42, v37
	v_lshlrev_b32_sdwa v4, v39, v4 dst_sel:DWORD dst_unused:UNUSED_PAD src0_sel:DWORD src1_sel:BYTE_0
	v_fma_f32 v43, -v37, v42, 1.0
	v_fmac_f32_e32 v42, v43, v42
	v_div_scale_f32 v43, vcc, v2, v41, v2
	v_mul_f32_e32 v44, v43, v42
	v_fma_f32 v45, -v37, v44, v43
	v_fmac_f32_e32 v44, v45, v42
	v_fma_f32 v37, -v37, v44, v43
	v_div_fmas_f32 v37, v37, v42, v44
	v_div_fixup_f32 v2, v37, v41, v2
	v_cmp_nlg_f32_e64 vcc, |v2|, s63
	v_med3_f32 v37, v2, s64, v38
	s_nop 0
	v_cndmask_b32_e32 v2, v37, v2, vcc
	v_mov_b32_e32 v37, 0
	v_cvt_pk_fp8_f32 v37, v2, v2
	v_and_b32_e32 v2, 0xffff0000, v5
	v_div_scale_f32 v5, s[66:67], v41, v41, v2
	v_rcp_f32_e32 v42, v5
	s_nop 0
	v_fma_f32 v43, -v5, v42, 1.0
	v_fmac_f32_e32 v42, v43, v42
	v_div_scale_f32 v43, vcc, v2, v41, v2
	v_mul_f32_e32 v44, v43, v42
	v_fma_f32 v45, -v5, v44, v43
	v_fmac_f32_e32 v44, v45, v42
	v_fma_f32 v5, -v5, v44, v43
	v_div_fmas_f32 v5, v5, v42, v44
	v_div_fixup_f32 v2, v5, v41, v2
	v_cmp_nlg_f32_e64 vcc, |v2|, s63
	v_med3_f32 v5, v2, s64, v38
	s_nop 0
	v_cndmask_b32_e32 v2, v5, v2, vcc
	v_mov_b32_e32 v5, 0
	v_cvt_pk_fp8_f32 v5, v2, v2
	v_cmp_le_i32_e32 vcc, s61, v8
	s_or_b64 s[54:55], vcc, s[54:55]
	v_lshlrev_b32_e32 v2, 24, v5
	v_and_b32_e32 v5, 0xff, v37
	v_lshlrev_b32_e32 v5, 16, v5
	v_or_b32_e32 v2, v2, v5
	v_or3_b32 v3, v2, v4, v3
	v_lshlrev_b32_e32 v2, 16, v35
	v_lshlrev_b32_e32 v4, 8, v34
	v_perm_b32 v2, v36, v2, s65
	v_and_b32_e32 v5, 0xff, v15
	v_and_b32_e32 v4, 0xff00, v4
	v_or3_b32 v2, v2, v4, v5
	global_store_dwordx2 v[32:33], v[2:3], off
	v_lshl_add_u64 v[32:33], v[32:33], 0, s[46:47]
	s_andn2_b64 exec, exec, s[54:55]
	s_cbranch_execnz .LBB12_22
.LBB12_23:                              ;   in Loop: Header=BB12_9 Depth=1
	s_or_b64 exec, exec, s[52:53]
.LBB12_24:                              ;   in Loop: Header=BB12_9 Depth=1
	s_or_b64 exec, exec, s[50:51]
	v_lshl_add_u64 v[2:3], v[28:29], 1, s[30:31]
	v_and_b32_e32 v8, 15, v2
	v_cmp_ne_u64_e32 vcc, 0, v[8:9]
	s_or_b64 s[50:51], s[44:45], vcc
	s_and_saveexec_b64 s[52:53], s[50:51]
	s_xor_b64 s[50:51], exec, s[52:53]
	s_cbranch_execz .LBB12_34
; %bb.25:                               ;   in Loop: Header=BB12_9 Depth=1
	v_sub_u32_e32 v4, 0, v2
	v_bfe_u32 v4, v4, 1, 3
	v_min_i32_e32 v28, s13, v4
	v_cmp_gt_i32_e32 vcc, v28, v6
	s_and_saveexec_b64 s[52:53], vcc
	s_cbranch_execz .LBB12_27
; %bb.26:                               ;   in Loop: Header=BB12_9 Depth=1
	v_lshlrev_b32_e32 v8, 1, v6
	v_lshl_add_u64 v[2:3], v[2:3], 0, v[8:9]
	global_load_ushort v2, v[2:3], off
	s_waitcnt vmcnt(0)
	v_lshlrev_b32_e32 v2, 16, v2
	v_div_scale_f32 v3, s[54:55], v40, v40, v2
	v_rcp_f32_e32 v4, v3
	v_div_scale_f32 v5, vcc, v2, v40, v2
	v_fma_f32 v8, -v3, v4, 1.0
	v_fmac_f32_e32 v4, v8, v4
	v_mul_f32_e32 v8, v5, v4
	v_fma_f32 v15, -v3, v8, v5
	v_fmac_f32_e32 v8, v15, v4
	v_fma_f32 v3, -v3, v8, v5
	v_div_fmas_f32 v3, v3, v4, v8
	v_div_fixup_f32 v2, v3, v40, v2
	v_med3_f32 v3, v2, s64, v38
	v_cmp_nlg_f32_e64 vcc, |v2|, s63
	v_mov_b32_e32 v4, v9
	s_nop 0
	v_cndmask_b32_e32 v2, v3, v2, vcc
	v_cvt_pk_fp8_f32 v4, v2, v2
	v_lshl_add_u64 v[2:3], s[28:29], 0, v[26:27]
	v_lshl_add_u64 v[2:3], v[2:3], 0, v[6:7]
	global_store_byte v[2:3], v4, off
.LBB12_27:                              ;   in Loop: Header=BB12_9 Depth=1
	s_or_b64 exec, exec, s[52:53]
	v_sub_u32_e32 v8, s13, v28
	v_ashrrev_i32_e32 v2, 31, v8
	v_lshrrev_b32_e32 v2, 29, v2
	v_add_u32_e32 v2, v8, v2
	v_ashrrev_i32_e32 v29, 31, v28
	v_ashrrev_i32_e32 v15, 3, v2
	v_cmp_gt_i32_e32 vcc, v15, v6
	v_lshl_add_u64 v[24:25], v[28:29], 1, v[24:25]
	s_and_saveexec_b64 s[52:53], vcc
	s_cbranch_execz .LBB12_30
; %bb.28:                               ;   in Loop: Header=BB12_9 Depth=1
	v_lshl_add_u64 v[26:27], v[18:19], 0, v[28:29]
	v_lshl_add_u64 v[30:31], v[20:21], 0, v[24:25]
	s_mov_b64 s[54:55], 0
	v_mov_b32_e32 v32, v6
.LBB12_29:                              ;   Parent Loop BB12_9 Depth=1
                                        ; =>  This Inner Loop Header: Depth=2
	global_load_dwordx4 v[2:5], v[30:31], off
	v_add_u32_e32 v32, 32, v32
	v_lshl_add_u64 v[30:31], v[30:31], 0, s[48:49]
	s_waitcnt vmcnt(0)
	v_lshlrev_b32_e32 v33, 16, v2
	v_div_scale_f32 v34, s[66:67], v40, v40, v33
	v_rcp_f32_e32 v35, v34
	v_and_b32_e32 v2, 0xffff0000, v2
	v_fma_f32 v36, -v34, v35, 1.0
	v_fmac_f32_e32 v35, v36, v35
	v_div_scale_f32 v36, vcc, v33, v40, v33
	v_mul_f32_e32 v37, v36, v35
	v_fma_f32 v41, -v34, v37, v36
	v_fmac_f32_e32 v37, v41, v35
	v_fma_f32 v34, -v34, v37, v36
	v_div_fmas_f32 v34, v34, v35, v37
	v_div_fixup_f32 v33, v34, v40, v33
	v_cmp_nlg_f32_e64 vcc, |v33|, s63
	v_med3_f32 v34, v33, s64, v38
	s_nop 0
	v_cndmask_b32_e32 v34, v34, v33, vcc
	v_mov_b32_e32 v33, 0
	v_cvt_pk_fp8_f32 v33, v34, v34
	v_div_scale_f32 v34, s[66:67], v40, v40, v2
	v_rcp_f32_e32 v35, v34
	s_nop 0
	v_fma_f32 v36, -v34, v35, 1.0
	v_fmac_f32_e32 v35, v36, v35
	v_div_scale_f32 v36, vcc, v2, v40, v2
	v_mul_f32_e32 v37, v36, v35
	v_fma_f32 v41, -v34, v37, v36
	v_fmac_f32_e32 v37, v41, v35
	v_fma_f32 v34, -v34, v37, v36
	v_div_fmas_f32 v34, v34, v35, v37
	v_div_fixup_f32 v2, v34, v40, v2
	v_cmp_nlg_f32_e64 vcc, |v2|, s63
	v_med3_f32 v34, v2, s64, v38
	s_nop 0
	v_cndmask_b32_e32 v2, v34, v2, vcc
	v_mov_b32_e32 v34, 0
	v_cvt_pk_fp8_f32 v34, v2, v2
	v_lshlrev_b32_e32 v2, 16, v3
	v_div_scale_f32 v35, s[66:67], v40, v40, v2
	v_rcp_f32_e32 v36, v35
	s_nop 0
	v_fma_f32 v37, -v35, v36, 1.0
	v_fmac_f32_e32 v36, v37, v36
	v_div_scale_f32 v37, vcc, v2, v40, v2
	v_mul_f32_e32 v41, v37, v36
	v_fma_f32 v42, -v35, v41, v37
	v_fmac_f32_e32 v41, v42, v36
	v_fma_f32 v35, -v35, v41, v37
	v_div_fmas_f32 v35, v35, v36, v41
	v_div_fixup_f32 v2, v35, v40, v2
	v_cmp_nlg_f32_e64 vcc, |v2|, s63
	v_med3_f32 v35, v2, s64, v38
	s_nop 0
	v_cndmask_b32_e32 v2, v35, v2, vcc
	v_mov_b32_e32 v35, 0
	v_cvt_pk_fp8_f32 v35, v2, v2
	v_and_b32_e32 v2, 0xffff0000, v3
	v_div_scale_f32 v3, s[66:67], v40, v40, v2
	v_rcp_f32_e32 v36, v3
	s_nop 0
	v_fma_f32 v37, -v3, v36, 1.0
	v_fmac_f32_e32 v36, v37, v36
	v_div_scale_f32 v37, vcc, v2, v40, v2
	v_mul_f32_e32 v41, v37, v36
	v_fma_f32 v42, -v3, v41, v37
	v_fmac_f32_e32 v41, v42, v36
	v_fma_f32 v3, -v3, v41, v37
	v_div_fmas_f32 v3, v3, v36, v41
	v_div_fixup_f32 v2, v3, v40, v2
	v_cmp_nlg_f32_e64 vcc, |v2|, s63
	v_med3_f32 v3, v2, s64, v38
	v_mov_b32_e32 v36, 0
	v_cndmask_b32_e32 v2, v3, v2, vcc
	v_cvt_pk_fp8_f32 v36, v2, v2
	v_lshlrev_b32_e32 v2, 16, v4
	v_div_scale_f32 v3, s[66:67], v40, v40, v2
	v_rcp_f32_e32 v37, v3
	s_nop 0
	v_fma_f32 v41, -v3, v37, 1.0
	v_fmac_f32_e32 v37, v41, v37
	v_div_scale_f32 v41, vcc, v2, v40, v2
	v_mul_f32_e32 v42, v41, v37
	v_fma_f32 v43, -v3, v42, v41
	v_fmac_f32_e32 v42, v43, v37
	v_fma_f32 v3, -v3, v42, v41
	v_div_fmas_f32 v3, v3, v37, v42
	v_div_fixup_f32 v2, v3, v40, v2
	v_cmp_nlg_f32_e64 vcc, |v2|, s63
	v_med3_f32 v3, v2, s64, v38
	s_nop 0
	v_cndmask_b32_e32 v2, v3, v2, vcc
	v_mov_b32_e32 v3, 0
	v_cvt_pk_fp8_f32 v3, v2, v2
	v_and_b32_e32 v2, 0xffff0000, v4
	v_div_scale_f32 v4, s[66:67], v40, v40, v2
	v_rcp_f32_e32 v37, v4
	v_and_b32_e32 v3, 0xff, v3
	v_fma_f32 v41, -v4, v37, 1.0
	v_fmac_f32_e32 v37, v41, v37
	v_div_scale_f32 v41, vcc, v2, v40, v2
	v_mul_f32_e32 v42, v41, v37
	v_fma_f32 v43, -v4, v42, v41
	v_fmac_f32_e32 v42, v43, v37
	v_fma_f32 v4, -v4, v42, v41
	v_div_fmas_f32 v4, v4, v37, v42
	v_div_fixup_f32 v2, v4, v40, v2
	v_cmp_nlg_f32_e64 vcc, |v2|, s63
	v_med3_f32 v4, v2, s64, v38
	s_nop 0
	v_cndmask_b32_e32 v2, v4, v2, vcc
	v_mov_b32_e32 v4, 0
	v_cvt_pk_fp8_f32 v4, v2, v2
	v_lshlrev_b32_e32 v2, 16, v5
	v_div_scale_f32 v37, s[66:67], v40, v40, v2
	v_rcp_f32_e32 v41, v37
	v_lshlrev_b32_sdwa v4, v39, v4 dst_sel:DWORD dst_unused:UNUSED_PAD src0_sel:DWORD src1_sel:BYTE_0
	v_fma_f32 v42, -v37, v41, 1.0
	v_fmac_f32_e32 v41, v42, v41
	v_div_scale_f32 v42, vcc, v2, v40, v2
	v_mul_f32_e32 v43, v42, v41
	v_fma_f32 v44, -v37, v43, v42
	v_fmac_f32_e32 v43, v44, v41
	v_fma_f32 v37, -v37, v43, v42
	v_div_fmas_f32 v37, v37, v41, v43
	v_div_fixup_f32 v2, v37, v40, v2
	v_cmp_nlg_f32_e64 vcc, |v2|, s63
	v_med3_f32 v37, v2, s64, v38
	s_nop 0
	v_cndmask_b32_e32 v2, v37, v2, vcc
	v_mov_b32_e32 v37, 0
	v_cvt_pk_fp8_f32 v37, v2, v2
	v_and_b32_e32 v2, 0xffff0000, v5
	v_div_scale_f32 v5, s[66:67], v40, v40, v2
	v_rcp_f32_e32 v41, v5
	s_nop 0
	v_fma_f32 v42, -v5, v41, 1.0
	v_fmac_f32_e32 v41, v42, v41
	v_div_scale_f32 v42, vcc, v2, v40, v2
	v_mul_f32_e32 v43, v42, v41
	v_fma_f32 v44, -v5, v43, v42
	v_fmac_f32_e32 v43, v44, v41
	v_fma_f32 v5, -v5, v43, v42
	v_div_fmas_f32 v5, v5, v41, v43
	v_div_fixup_f32 v2, v5, v40, v2
	v_cmp_nlg_f32_e64 vcc, |v2|, s63
	v_med3_f32 v5, v2, s64, v38
	s_nop 0
	v_cndmask_b32_e32 v2, v5, v2, vcc
	v_mov_b32_e32 v5, 0
	v_cvt_pk_fp8_f32 v5, v2, v2
	v_cmp_ge_i32_e32 vcc, v32, v15
	s_or_b64 s[54:55], vcc, s[54:55]
	v_lshlrev_b32_e32 v2, 24, v5
	v_and_b32_e32 v5, 0xff, v37
	v_lshlrev_b32_e32 v5, 16, v5
	v_or_b32_e32 v2, v2, v5
	v_or3_b32 v3, v2, v4, v3
	v_lshlrev_b32_e32 v2, 16, v35
	v_lshlrev_b32_e32 v4, 8, v34
	v_perm_b32 v2, v36, v2, s65
	v_and_b32_e32 v5, 0xff, v33
	v_and_b32_e32 v4, 0xff00, v4
	v_or3_b32 v2, v2, v4, v5
	global_store_dwordx2 v[26:27], v[2:3], off
	v_lshl_add_u64 v[26:27], v[26:27], 0, s[46:47]
	s_andn2_b64 exec, exec, s[54:55]
	s_cbranch_execnz .LBB12_29
.LBB12_30:                              ;   in Loop: Header=BB12_9 Depth=1
	s_or_b64 exec, exec, s[52:53]
	v_lshl_add_u32 v2, v15, 3, v6
	v_cmp_lt_i32_e32 vcc, v2, v8
	s_and_saveexec_b64 s[52:53], vcc
	s_cbranch_execz .LBB12_33
; %bb.31:                               ;   in Loop: Header=BB12_9 Depth=1
	v_ashrrev_i32_e32 v3, 31, v2
	v_lshl_add_u64 v[4:5], v[2:3], 1, v[24:25]
	v_lshl_add_u64 v[24:25], v[28:29], 0, v[2:3]
	;; [unrolled: 1-line block ×4, first 2 shown]
	s_mov_b64 s[54:55], 0
.LBB12_32:                              ;   Parent Loop BB12_9 Depth=1
                                        ; =>  This Inner Loop Header: Depth=2
	global_load_ushort v3, v[4:5], off
	v_mov_b32_e32 v15, 0
	v_add_u32_e32 v2, 32, v2
	v_lshl_add_u64 v[4:5], v[4:5], 0, 64
	s_waitcnt vmcnt(0)
	v_lshlrev_b32_e32 v3, 16, v3
	v_div_scale_f32 v26, s[66:67], v40, v40, v3
	v_rcp_f32_e32 v28, v26
	v_div_scale_f32 v27, vcc, v3, v40, v3
	v_fma_f32 v29, -v26, v28, 1.0
	v_fmac_f32_e32 v28, v29, v28
	v_mul_f32_e32 v29, v27, v28
	v_fma_f32 v30, -v26, v29, v27
	v_fmac_f32_e32 v29, v30, v28
	v_fma_f32 v26, -v26, v29, v27
	v_div_fmas_f32 v26, v26, v28, v29
	v_div_fixup_f32 v3, v26, v40, v3
	v_med3_f32 v26, v3, s64, v38
	v_cmp_nlg_f32_e64 vcc, |v3|, s63
	s_nop 1
	v_cndmask_b32_e32 v3, v26, v3, vcc
	v_cvt_pk_fp8_f32 v15, v3, v3
	v_cmp_ge_i32_e32 vcc, v2, v8
	s_or_b64 s[54:55], vcc, s[54:55]
	global_store_byte v[24:25], v15, off
	v_lshl_add_u64 v[24:25], v[24:25], 0, 32
	s_andn2_b64 exec, exec, s[54:55]
	s_cbranch_execnz .LBB12_32
.LBB12_33:                              ;   in Loop: Header=BB12_9 Depth=1
	s_or_b64 exec, exec, s[52:53]
                                        ; implicit-def: $vgpr40
                                        ; implicit-def: $vgpr24_vgpr25
.LBB12_34:                              ;   in Loop: Header=BB12_9 Depth=1
	s_andn2_saveexec_b64 s[50:51], s[50:51]
	s_cbranch_execz .LBB12_8
; %bb.35:                               ;   in Loop: Header=BB12_9 Depth=1
	s_and_saveexec_b64 s[52:53], s[2:3]
	s_cbranch_execz .LBB12_7
; %bb.36:                               ;   in Loop: Header=BB12_9 Depth=1
	v_lshl_add_u64 v[24:25], v[20:21], 0, v[24:25]
	s_mov_b64 s[54:55], 0
	v_mov_b64_e32 v[26:27], v[18:19]
	v_mov_b32_e32 v8, v6
.LBB12_37:                              ;   Parent Loop BB12_9 Depth=1
                                        ; =>  This Inner Loop Header: Depth=2
	global_load_dwordx4 v[2:5], v[24:25], off
	v_add_u32_e32 v8, 32, v8
	v_lshl_add_u64 v[24:25], v[24:25], 0, s[48:49]
	s_waitcnt vmcnt(0)
	v_lshlrev_b32_e32 v15, 16, v2
	v_div_scale_f32 v28, s[66:67], v40, v40, v15
	v_rcp_f32_e32 v29, v28
	v_and_b32_e32 v2, 0xffff0000, v2
	v_fma_f32 v30, -v28, v29, 1.0
	v_fmac_f32_e32 v29, v30, v29
	v_div_scale_f32 v30, vcc, v15, v40, v15
	v_mul_f32_e32 v31, v30, v29
	v_fma_f32 v32, -v28, v31, v30
	v_fmac_f32_e32 v31, v32, v29
	v_fma_f32 v28, -v28, v31, v30
	v_div_fmas_f32 v28, v28, v29, v31
	v_div_fixup_f32 v15, v28, v40, v15
	v_cmp_nlg_f32_e64 vcc, |v15|, s63
	v_med3_f32 v28, v15, s64, v38
	s_nop 0
	v_cndmask_b32_e32 v28, v28, v15, vcc
	v_mov_b32_e32 v15, 0
	v_cvt_pk_fp8_f32 v15, v28, v28
	v_div_scale_f32 v28, s[66:67], v40, v40, v2
	v_rcp_f32_e32 v29, v28
	s_nop 0
	v_fma_f32 v30, -v28, v29, 1.0
	v_fmac_f32_e32 v29, v30, v29
	v_div_scale_f32 v30, vcc, v2, v40, v2
	v_mul_f32_e32 v31, v30, v29
	v_fma_f32 v32, -v28, v31, v30
	v_fmac_f32_e32 v31, v32, v29
	v_fma_f32 v28, -v28, v31, v30
	v_div_fmas_f32 v28, v28, v29, v31
	v_div_fixup_f32 v2, v28, v40, v2
	v_cmp_nlg_f32_e64 vcc, |v2|, s63
	v_med3_f32 v28, v2, s64, v38
	s_nop 0
	v_cndmask_b32_e32 v2, v28, v2, vcc
	v_mov_b32_e32 v28, 0
	v_cvt_pk_fp8_f32 v28, v2, v2
	v_lshlrev_b32_e32 v2, 16, v3
	v_div_scale_f32 v29, s[66:67], v40, v40, v2
	v_rcp_f32_e32 v30, v29
	s_nop 0
	v_fma_f32 v31, -v29, v30, 1.0
	v_fmac_f32_e32 v30, v31, v30
	v_div_scale_f32 v31, vcc, v2, v40, v2
	v_mul_f32_e32 v32, v31, v30
	v_fma_f32 v33, -v29, v32, v31
	v_fmac_f32_e32 v32, v33, v30
	v_fma_f32 v29, -v29, v32, v31
	v_div_fmas_f32 v29, v29, v30, v32
	v_div_fixup_f32 v2, v29, v40, v2
	v_cmp_nlg_f32_e64 vcc, |v2|, s63
	v_med3_f32 v29, v2, s64, v38
	s_nop 0
	v_cndmask_b32_e32 v2, v29, v2, vcc
	v_mov_b32_e32 v29, 0
	v_cvt_pk_fp8_f32 v29, v2, v2
	v_and_b32_e32 v2, 0xffff0000, v3
	v_div_scale_f32 v3, s[66:67], v40, v40, v2
	v_rcp_f32_e32 v30, v3
	s_nop 0
	v_fma_f32 v31, -v3, v30, 1.0
	v_fmac_f32_e32 v30, v31, v30
	v_div_scale_f32 v31, vcc, v2, v40, v2
	v_mul_f32_e32 v32, v31, v30
	v_fma_f32 v33, -v3, v32, v31
	v_fmac_f32_e32 v32, v33, v30
	v_fma_f32 v3, -v3, v32, v31
	v_div_fmas_f32 v3, v3, v30, v32
	v_div_fixup_f32 v2, v3, v40, v2
	v_cmp_nlg_f32_e64 vcc, |v2|, s63
	v_med3_f32 v3, v2, s64, v38
	v_mov_b32_e32 v30, 0
	v_cndmask_b32_e32 v2, v3, v2, vcc
	v_cvt_pk_fp8_f32 v30, v2, v2
	v_lshlrev_b32_e32 v2, 16, v4
	v_div_scale_f32 v3, s[66:67], v40, v40, v2
	v_rcp_f32_e32 v31, v3
	s_nop 0
	v_fma_f32 v32, -v3, v31, 1.0
	v_fmac_f32_e32 v31, v32, v31
	v_div_scale_f32 v32, vcc, v2, v40, v2
	v_mul_f32_e32 v33, v32, v31
	v_fma_f32 v34, -v3, v33, v32
	v_fmac_f32_e32 v33, v34, v31
	v_fma_f32 v3, -v3, v33, v32
	v_div_fmas_f32 v3, v3, v31, v33
	v_div_fixup_f32 v2, v3, v40, v2
	v_cmp_nlg_f32_e64 vcc, |v2|, s63
	v_med3_f32 v3, v2, s64, v38
	s_nop 0
	v_cndmask_b32_e32 v2, v3, v2, vcc
	v_mov_b32_e32 v3, 0
	v_cvt_pk_fp8_f32 v3, v2, v2
	v_and_b32_e32 v2, 0xffff0000, v4
	v_div_scale_f32 v4, s[66:67], v40, v40, v2
	v_rcp_f32_e32 v31, v4
	v_and_b32_e32 v3, 0xff, v3
	v_fma_f32 v32, -v4, v31, 1.0
	v_fmac_f32_e32 v31, v32, v31
	v_div_scale_f32 v32, vcc, v2, v40, v2
	v_mul_f32_e32 v33, v32, v31
	v_fma_f32 v34, -v4, v33, v32
	v_fmac_f32_e32 v33, v34, v31
	v_fma_f32 v4, -v4, v33, v32
	v_div_fmas_f32 v4, v4, v31, v33
	v_div_fixup_f32 v2, v4, v40, v2
	v_cmp_nlg_f32_e64 vcc, |v2|, s63
	v_med3_f32 v4, v2, s64, v38
	s_nop 0
	v_cndmask_b32_e32 v2, v4, v2, vcc
	v_mov_b32_e32 v4, 0
	v_cvt_pk_fp8_f32 v4, v2, v2
	v_lshlrev_b32_e32 v2, 16, v5
	v_div_scale_f32 v31, s[66:67], v40, v40, v2
	v_rcp_f32_e32 v32, v31
	v_lshlrev_b32_sdwa v4, v39, v4 dst_sel:DWORD dst_unused:UNUSED_PAD src0_sel:DWORD src1_sel:BYTE_0
	v_fma_f32 v33, -v31, v32, 1.0
	v_fmac_f32_e32 v32, v33, v32
	v_div_scale_f32 v33, vcc, v2, v40, v2
	v_mul_f32_e32 v34, v33, v32
	v_fma_f32 v35, -v31, v34, v33
	v_fmac_f32_e32 v34, v35, v32
	v_fma_f32 v31, -v31, v34, v33
	v_div_fmas_f32 v31, v31, v32, v34
	v_div_fixup_f32 v2, v31, v40, v2
	v_cmp_nlg_f32_e64 vcc, |v2|, s63
	v_med3_f32 v31, v2, s64, v38
	s_nop 0
	v_cndmask_b32_e32 v2, v31, v2, vcc
	v_mov_b32_e32 v31, 0
	v_cvt_pk_fp8_f32 v31, v2, v2
	v_and_b32_e32 v2, 0xffff0000, v5
	v_div_scale_f32 v5, s[66:67], v40, v40, v2
	v_rcp_f32_e32 v32, v5
	s_nop 0
	v_fma_f32 v33, -v5, v32, 1.0
	v_fmac_f32_e32 v32, v33, v32
	v_div_scale_f32 v33, vcc, v2, v40, v2
	v_mul_f32_e32 v34, v33, v32
	v_fma_f32 v35, -v5, v34, v33
	v_fmac_f32_e32 v34, v35, v32
	v_fma_f32 v5, -v5, v34, v33
	v_div_fmas_f32 v5, v5, v32, v34
	v_div_fixup_f32 v2, v5, v40, v2
	v_cmp_nlg_f32_e64 vcc, |v2|, s63
	v_med3_f32 v5, v2, s64, v38
	s_nop 0
	v_cndmask_b32_e32 v2, v5, v2, vcc
	v_mov_b32_e32 v5, 0
	v_cvt_pk_fp8_f32 v5, v2, v2
	v_cmp_le_i32_e32 vcc, s61, v8
	s_or_b64 s[54:55], vcc, s[54:55]
	v_lshlrev_b32_e32 v2, 24, v5
	v_and_b32_e32 v5, 0xff, v31
	v_lshlrev_b32_e32 v5, 16, v5
	v_or_b32_e32 v2, v2, v5
	v_or3_b32 v3, v2, v4, v3
	v_lshlrev_b32_e32 v2, 16, v29
	v_lshlrev_b32_e32 v4, 8, v28
	v_perm_b32 v2, v30, v2, s65
	v_and_b32_e32 v5, 0xff, v15
	v_and_b32_e32 v4, 0xff00, v4
	v_or3_b32 v2, v2, v4, v5
	global_store_dwordx2 v[26:27], v[2:3], off
	v_lshl_add_u64 v[26:27], v[26:27], 0, s[46:47]
	s_andn2_b64 exec, exec, s[54:55]
	s_cbranch_execnz .LBB12_37
	s_branch .LBB12_7
.LBB12_38:
	s_or_b64 exec, exec, s[6:7]
	s_mov_b64 s[2:3], 0
.LBB12_39:
	s_andn2_b64 vcc, exec, s[2:3]
	s_cbranch_vccnz .LBB12_71
; %bb.40:
	s_load_dword s1, s[0:1], 0x84
	s_nop 0
	s_load_dword s31, s[24:25], 0x0
	s_load_dword s46, s[26:27], 0x0
	s_and_b32 s0, s10, 15
	s_mul_i32 s47, s13, s12
	s_waitcnt lgkmcnt(0)
	s_and_b32 s24, s1, 0xffff
	s_mov_b32 s1, 0
	s_cmp_lg_u64 s[0:1], 0
	s_cselect_b64 s[0:1], -1, 0
	s_and_b32 s2, s47, 7
	s_cmp_eq_u32 s2, 0
	s_cselect_b64 s[26:27], -1, 0
	s_cmp_lg_u32 s2, 0
	s_cselect_b64 s[2:3], -1, 0
	s_or_b64 s[2:3], s[0:1], s[2:3]
	s_mov_b64 s[0:1], -1
	s_and_b64 vcc, exec, s[2:3]
	s_cbranch_vccz .LBB12_51
; %bb.41:
	s_sub_i32 s0, 0, s10
	s_bfe_u32 s0, s0, 0x30001
	s_min_i32 s36, s0, s47
	v_cmp_gt_i32_e32 vcc, s36, v0
	s_and_saveexec_b64 s[0:1], vcc
	s_cbranch_execz .LBB12_44
; %bb.42:
	v_mov_b32_e32 v1, 0
	s_add_u32 s2, s16, s34
	s_mov_b32 s25, 0
	v_lshlrev_b32_e32 v2, 1, v0
	v_mov_b32_e32 v3, v1
	s_addc_u32 s3, s17, s35
	v_lshl_add_u64 v[2:3], s[2:3], 0, v[2:3]
	s_lshl_b32 s2, s24, 1
	s_mov_b32 s3, s25
	s_mov_b64 s[6:7], 0
	s_mov_b32 s8, 0x7f800000
	s_mov_b32 s9, 0x43700000
	v_mov_b32_e32 v6, 0xc3700000
	v_mov_b64_e32 v[4:5], v[0:1]
.LBB12_43:                              ; =>This Inner Loop Header: Depth=1
	global_load_ushort v1, v[2:3], off
	v_mov_b32_e32 v7, 0
	v_lshl_add_u64 v[8:9], s[4:5], 0, v[4:5]
	v_lshl_add_u64 v[4:5], v[4:5], 0, s[24:25]
	;; [unrolled: 1-line block ×3, first 2 shown]
	s_waitcnt vmcnt(0)
	v_lshlrev_b32_e32 v1, 16, v1
	v_div_scale_f32 v10, s[10:11], s31, s31, v1
	v_rcp_f32_e32 v11, v10
	v_div_scale_f32 v12, vcc, v1, s31, v1
	v_fma_f32 v13, -v10, v11, 1.0
	v_fmac_f32_e32 v11, v13, v11
	v_mul_f32_e32 v13, v12, v11
	v_fma_f32 v14, -v10, v13, v12
	v_fmac_f32_e32 v13, v14, v11
	v_fma_f32 v10, -v10, v13, v12
	v_div_fmas_f32 v10, v10, v11, v13
	v_div_fixup_f32 v1, v10, s31, v1
	v_med3_f32 v10, v1, s9, v6
	v_cmp_nlg_f32_e64 vcc, |v1|, s8
	s_nop 1
	v_cndmask_b32_e32 v1, v10, v1, vcc
	v_cvt_pk_fp8_f32 v7, v1, v1
	v_cmp_le_i32_e32 vcc, s36, v4
	s_or_b64 s[6:7], vcc, s[6:7]
	global_store_byte v[8:9], v7, off
	s_andn2_b64 exec, exec, s[6:7]
	s_cbranch_execnz .LBB12_43
.LBB12_44:
	s_or_b64 exec, exec, s[0:1]
	s_sub_i32 s25, s47, s36
	s_ashr_i32 s0, s25, 31
	s_lshr_b32 s0, s0, 29
	s_add_i32 s0, s25, s0
	s_ashr_i32 s48, s0, 3
	s_ashr_i32 s37, s36, 31
	v_cmp_gt_i32_e32 vcc, s48, v0
	s_and_saveexec_b64 s[38:39], vcc
	s_cbranch_execz .LBB12_47
; %bb.45:
	s_add_u32 s0, s36, s56
	s_addc_u32 s1, s37, s33
	s_add_u32 s0, s0, s58
	s_addc_u32 s1, s1, s57
	s_add_u32 s0, s20, s0
	v_lshlrev_b32_e32 v2, 3, v0
	v_mov_b32_e32 v3, 0
	s_addc_u32 s1, s21, s1
	v_lshl_add_u64 v[6:7], s[0:1], 0, v[2:3]
	s_lshl_b32 s40, s24, 3
	s_lshl_b64 s[0:1], s[36:37], 1
	s_add_u32 s0, s16, s0
	s_addc_u32 s1, s17, s1
	s_add_u32 s0, s0, s34
	s_mov_b32 s41, 0
	v_lshlrev_b32_e32 v2, 4, v0
	s_addc_u32 s1, s1, s35
	v_lshl_add_u64 v[8:9], s[0:1], 0, v[2:3]
	s_lshl_b32 s42, s24, 4
	s_mov_b32 s43, s41
	s_mov_b64 s[44:45], 0
	s_mov_b32 s49, 0x7f800000
	s_mov_b32 s50, 0x43700000
	v_mov_b32_e32 v1, 0xc3700000
	s_mov_b32 s51, 0x4020c0c
	v_mov_b32_e32 v10, 8
	v_mov_b32_e32 v11, v0
.LBB12_46:                              ; =>This Inner Loop Header: Depth=1
	global_load_dwordx4 v[2:5], v[8:9], off
	v_add_u32_e32 v11, s24, v11
	v_cmp_le_i32_e32 vcc, s48, v11
	s_or_b64 s[44:45], vcc, s[44:45]
	v_mov_b32_e32 v12, 0
	v_mov_b32_e32 v13, 0
	;; [unrolled: 1-line block ×8, first 2 shown]
	v_lshl_add_u64 v[8:9], v[8:9], 0, s[42:43]
	s_waitcnt vmcnt(0)
	v_lshlrev_b32_e32 v20, 16, v2
	v_and_b32_e32 v2, 0xffff0000, v2
	v_div_scale_f32 v24, s[0:1], s31, s31, v20
	v_lshlrev_b32_e32 v21, 16, v3
	v_div_scale_f32 v26, s[0:1], s31, s31, v2
	v_rcp_f32_e32 v40, v24
	v_div_scale_f32 v28, s[2:3], s31, s31, v21
	v_rcp_f32_e32 v41, v26
	v_and_b32_e32 v3, 0xffff0000, v3
	v_rcp_f32_e32 v42, v28
	v_div_scale_f32 v30, s[4:5], s31, s31, v3
	v_lshlrev_b32_e32 v22, 16, v4
	v_rcp_f32_e32 v43, v30
	v_fma_f32 v48, -v24, v40, 1.0
	v_div_scale_f32 v25, vcc, v20, s31, v20
	v_div_scale_f32 v32, s[6:7], s31, s31, v22
	v_fma_f32 v49, -v26, v41, 1.0
	v_fmac_f32_e32 v40, v48, v40
	v_and_b32_e32 v4, 0xffff0000, v4
	v_div_scale_f32 v27, s[0:1], v2, s31, v2
	v_rcp_f32_e32 v44, v32
	v_fma_f32 v50, -v28, v42, 1.0
	v_fmac_f32_e32 v41, v49, v41
	v_mul_f32_e32 v48, v25, v40
	v_div_scale_f32 v29, s[2:3], v21, s31, v21
	v_div_scale_f32 v34, s[8:9], s31, s31, v4
	v_fmac_f32_e32 v42, v50, v42
	v_mul_f32_e32 v49, v27, v41
	v_fma_f32 v56, -v24, v48, v25
	v_lshlrev_b32_e32 v23, 16, v5
	v_rcp_f32_e32 v45, v34
	v_fma_f32 v51, -v30, v43, 1.0
	v_mul_f32_e32 v50, v29, v42
	v_fma_f32 v57, -v26, v49, v27
	v_fmac_f32_e32 v48, v56, v40
	v_div_scale_f32 v31, s[4:5], v3, s31, v3
	v_div_scale_f32 v36, s[10:11], s31, s31, v23
	v_fmac_f32_e32 v43, v51, v43
	v_fma_f32 v58, -v28, v50, v29
	v_fmac_f32_e32 v49, v57, v41
	v_fma_f32 v24, -v24, v48, v25
	v_and_b32_e32 v5, 0xffff0000, v5
	v_rcp_f32_e32 v46, v36
	v_fma_f32 v52, -v32, v44, 1.0
	v_mul_f32_e32 v51, v31, v43
	v_fmac_f32_e32 v50, v58, v42
	v_fma_f32 v25, -v26, v49, v27
	v_div_fmas_f32 v24, v24, v40, v48
	s_mov_b64 vcc, s[0:1]
	v_div_scale_f32 v33, s[6:7], v22, s31, v22
	v_div_scale_f32 v38, s[12:13], s31, s31, v5
	v_fmac_f32_e32 v44, v52, v44
	v_fma_f32 v59, -v30, v51, v31
	v_fma_f32 v26, -v28, v50, v29
	v_div_fixup_f32 v20, v24, s31, v20
	v_div_fmas_f32 v24, v25, v41, v49
	s_mov_b64 vcc, s[2:3]
	v_rcp_f32_e32 v47, v38
	v_fma_f32 v53, -v34, v45, 1.0
	v_mul_f32_e32 v52, v33, v44
	v_fmac_f32_e32 v51, v59, v43
	v_med3_f32 v25, v20, s50, v1
	v_div_fixup_f32 v2, v24, s31, v2
	v_div_fmas_f32 v24, v26, v42, v50
	v_cmp_nlg_f32_e64 vcc, |v20|, s49
	v_div_scale_f32 v35, s[8:9], v4, s31, v4
	v_fmac_f32_e32 v45, v53, v45
	v_fma_f32 v60, -v32, v52, v33
	v_fma_f32 v27, -v30, v51, v31
	v_cndmask_b32_e32 v20, v25, v20, vcc
	s_mov_b64 vcc, s[4:5]
	v_fma_f32 v54, -v36, v46, 1.0
	v_mul_f32_e32 v53, v35, v45
	v_fmac_f32_e32 v52, v60, v44
	v_med3_f32 v25, v2, s50, v1
	v_div_fixup_f32 v21, v24, s31, v21
	v_div_fmas_f32 v24, v27, v43, v51
	v_cmp_nlg_f32_e64 vcc, |v2|, s49
	v_div_scale_f32 v37, s[10:11], v23, s31, v23
	v_fmac_f32_e32 v46, v54, v46
	v_fma_f32 v56, -v34, v53, v35
	v_fma_f32 v28, -v32, v52, v33
	v_cndmask_b32_e32 v2, v25, v2, vcc
	s_mov_b64 vcc, s[6:7]
	v_fma_f32 v55, -v38, v47, 1.0
	v_mul_f32_e32 v54, v37, v46
	v_fmac_f32_e32 v53, v56, v45
	v_cvt_pk_fp8_f32 v12, v20, v20
	v_med3_f32 v20, v21, s50, v1
	v_div_fixup_f32 v3, v24, s31, v3
	v_div_fmas_f32 v24, v28, v44, v52
	v_cmp_nlg_f32_e64 vcc, |v21|, s49
	v_div_scale_f32 v39, s[12:13], v5, s31, v5
	v_fmac_f32_e32 v47, v55, v47
	v_fma_f32 v57, -v36, v54, v37
	v_fma_f32 v29, -v34, v53, v35
	v_cvt_pk_fp8_f32 v13, v2, v2
	v_cndmask_b32_e32 v2, v20, v21, vcc
	s_mov_b64 vcc, s[8:9]
	v_mul_f32_e32 v55, v39, v47
	v_fmac_f32_e32 v54, v57, v46
	v_med3_f32 v20, v3, s50, v1
	v_div_fixup_f32 v21, v24, s31, v22
	v_div_fmas_f32 v22, v29, v45, v53
	v_cmp_nlg_f32_e64 vcc, |v3|, s49
	v_fma_f32 v58, -v38, v55, v39
	v_fma_f32 v30, -v36, v54, v37
	v_cvt_pk_fp8_f32 v14, v2, v2
	v_cndmask_b32_e32 v2, v20, v3, vcc
	s_mov_b64 vcc, s[10:11]
	v_fmac_f32_e32 v55, v58, v47
	v_med3_f32 v3, v21, s50, v1
	v_div_fmas_f32 v20, v30, v46, v54
	v_cmp_nlg_f32_e64 vcc, |v21|, s49
	v_fma_f32 v31, -v38, v55, v39
	v_div_fixup_f32 v4, v22, s31, v4
	v_cvt_pk_fp8_f32 v15, v2, v2
	v_cndmask_b32_e32 v2, v3, v21, vcc
	s_mov_b64 vcc, s[12:13]
	v_med3_f32 v3, v4, s50, v1
	v_div_fixup_f32 v20, v20, s31, v23
	v_div_fmas_f32 v21, v31, v47, v55
	v_cmp_nlg_f32_e64 vcc, |v4|, s49
	v_cvt_pk_fp8_f32 v16, v2, v2
	s_nop 0
	v_cndmask_b32_e32 v2, v3, v4, vcc
	v_med3_f32 v3, v20, s50, v1
	v_div_fixup_f32 v4, v21, s31, v5
	v_cmp_nlg_f32_e64 vcc, |v20|, s49
	v_cvt_pk_fp8_f32 v17, v2, v2
	v_and_b32_e32 v5, 0xff, v12
	v_cndmask_b32_e32 v2, v3, v20, vcc
	v_med3_f32 v3, v4, s50, v1
	v_cmp_nlg_f32_e64 vcc, |v4|, s49
	v_cvt_pk_fp8_f32 v18, v2, v2
	v_lshlrev_b32_e32 v12, 8, v13
	v_cndmask_b32_e32 v2, v3, v4, vcc
	v_cvt_pk_fp8_f32 v19, v2, v2
	v_lshlrev_b32_e32 v3, 16, v14
	v_and_b32_e32 v4, 0xff00, v12
	v_perm_b32 v2, v15, v3, s51
	v_or3_b32 v2, v2, v4, v5
	v_and_b32_e32 v5, 0xff, v18
	v_lshlrev_b32_e32 v12, 24, v19
	v_lshlrev_b32_e32 v5, 16, v5
	v_and_b32_e32 v3, 0xff, v16
	v_lshlrev_b32_sdwa v4, v10, v17 dst_sel:DWORD dst_unused:UNUSED_PAD src0_sel:DWORD src1_sel:BYTE_0
	v_or_b32_e32 v5, v12, v5
	v_or3_b32 v3, v5, v4, v3
	global_store_dwordx2 v[6:7], v[2:3], off
	v_lshl_add_u64 v[6:7], v[6:7], 0, s[40:41]
	s_andn2_b64 exec, exec, s[44:45]
	s_cbranch_execnz .LBB12_46
.LBB12_47:
	s_or_b64 exec, exec, s[38:39]
	v_lshl_add_u32 v2, s48, 3, v0
	v_cmp_gt_i32_e32 vcc, s25, v2
	s_and_saveexec_b64 s[0:1], vcc
	s_cbranch_execz .LBB12_50
; %bb.48:
	s_lshl_b64 s[4:5], s[36:37], 1
	s_add_u32 s2, s34, s4
	s_addc_u32 s5, s35, s5
	s_add_u32 s4, s16, s2
	v_ashrrev_i32_e32 v3, 31, v2
	s_addc_u32 s5, s17, s5
	s_lshl_b32 s2, s24, 1
	v_lshl_add_u64 v[4:5], v[2:3], 1, s[4:5]
	s_add_u32 s4, s36, s56
	s_addc_u32 s5, s37, s33
	s_add_u32 s4, s4, s58
	s_addc_u32 s5, s5, s57
	;; [unrolled: 2-line block ×3, first 2 shown]
	s_mov_b32 s3, 0
	v_lshl_add_u64 v[6:7], s[4:5], 0, v[2:3]
	s_mov_b64 s[4:5], 0
	s_mov_b32 s8, 0x7f800000
	s_mov_b32 s9, 0x43700000
	v_mov_b32_e32 v1, 0xc3700000
	s_mov_b64 s[6:7], 0
.LBB12_49:                              ; =>This Inner Loop Header: Depth=1
	global_load_ushort v3, v[4:5], off
	v_mov_b32_e32 v10, 0
	v_lshl_add_u64 v[8:9], v[6:7], 0, s[6:7]
	s_add_u32 s6, s6, s24
	s_addc_u32 s7, s7, 0
	v_lshl_add_u64 v[4:5], v[4:5], 0, s[2:3]
	s_waitcnt vmcnt(0)
	v_lshlrev_b32_e32 v3, 16, v3
	v_div_scale_f32 v11, s[10:11], s31, s31, v3
	v_rcp_f32_e32 v12, v11
	v_div_scale_f32 v13, vcc, v3, s31, v3
	v_fma_f32 v14, -v11, v12, 1.0
	v_fmac_f32_e32 v12, v14, v12
	v_mul_f32_e32 v14, v13, v12
	v_fma_f32 v15, -v11, v14, v13
	v_fmac_f32_e32 v14, v15, v12
	v_fma_f32 v11, -v11, v14, v13
	v_div_fmas_f32 v11, v11, v12, v14
	v_div_fixup_f32 v3, v11, s31, v3
	v_med3_f32 v11, v3, s9, v1
	v_cmp_nlg_f32_e64 vcc, |v3|, s8
	s_nop 1
	v_cndmask_b32_e32 v3, v11, v3, vcc
	v_cvt_pk_fp8_f32 v10, v3, v3
	v_add_u32_e32 v3, s6, v2
	v_cmp_le_i32_e32 vcc, s25, v3
	s_or_b64 s[4:5], vcc, s[4:5]
	global_store_byte v[8:9], v10, off
	s_andn2_b64 exec, exec, s[4:5]
	s_cbranch_execnz .LBB12_49
.LBB12_50:
	s_or_b64 exec, exec, s[0:1]
	s_mov_b64 s[0:1], 0
.LBB12_51:
	s_and_b64 vcc, exec, s[0:1]
	s_cbranch_vccz .LBB12_56
; %bb.52:
	s_ashr_i32 s25, s47, 3
	v_cmp_gt_i32_e32 vcc, s25, v0
	s_and_saveexec_b64 s[36:37], vcc
	s_cbranch_execz .LBB12_55
; %bb.53:
	s_add_u32 s0, s56, s58
	s_addc_u32 s1, s33, s57
	s_add_u32 s0, s20, s0
	v_lshlrev_b32_e32 v2, 3, v0
	v_mov_b32_e32 v3, 0
	s_addc_u32 s1, s21, s1
	s_lshl_b32 s38, s24, 3
	v_lshl_add_u64 v[6:7], s[0:1], 0, v[2:3]
	s_add_u32 s0, s16, s34
	s_mov_b32 s39, 0
	v_lshlrev_b32_e32 v2, 4, v0
	s_addc_u32 s1, s17, s35
	v_lshl_add_u64 v[8:9], s[0:1], 0, v[2:3]
	s_lshl_b32 s16, s24, 4
	s_mov_b32 s17, s39
	s_mov_b64 s[20:21], 0
	s_mov_b32 s34, 0x7f800000
	s_mov_b32 s35, 0x43700000
	v_mov_b32_e32 v1, 0xc3700000
	s_mov_b32 s40, 0x4020c0c
	v_mov_b32_e32 v10, 8
	v_mov_b32_e32 v11, v0
.LBB12_54:                              ; =>This Inner Loop Header: Depth=1
	global_load_dwordx4 v[2:5], v[8:9], off
	v_add_u32_e32 v11, s24, v11
	v_cmp_le_i32_e32 vcc, s25, v11
	s_or_b64 s[20:21], vcc, s[20:21]
	v_mov_b32_e32 v12, 0
	v_mov_b32_e32 v13, 0
	;; [unrolled: 1-line block ×8, first 2 shown]
	v_lshl_add_u64 v[8:9], v[8:9], 0, s[16:17]
	s_waitcnt vmcnt(0)
	v_lshlrev_b32_e32 v20, 16, v2
	v_and_b32_e32 v2, 0xffff0000, v2
	v_div_scale_f32 v24, s[0:1], s31, s31, v20
	v_lshlrev_b32_e32 v21, 16, v3
	v_div_scale_f32 v26, s[0:1], s31, s31, v2
	v_rcp_f32_e32 v40, v24
	v_div_scale_f32 v28, s[2:3], s31, s31, v21
	v_rcp_f32_e32 v41, v26
	v_and_b32_e32 v3, 0xffff0000, v3
	v_rcp_f32_e32 v42, v28
	v_div_scale_f32 v30, s[4:5], s31, s31, v3
	v_lshlrev_b32_e32 v22, 16, v4
	v_rcp_f32_e32 v43, v30
	v_fma_f32 v48, -v24, v40, 1.0
	v_div_scale_f32 v25, vcc, v20, s31, v20
	v_div_scale_f32 v32, s[6:7], s31, s31, v22
	v_fma_f32 v49, -v26, v41, 1.0
	v_fmac_f32_e32 v40, v48, v40
	v_and_b32_e32 v4, 0xffff0000, v4
	v_div_scale_f32 v27, s[0:1], v2, s31, v2
	v_rcp_f32_e32 v44, v32
	v_fma_f32 v50, -v28, v42, 1.0
	v_fmac_f32_e32 v41, v49, v41
	v_mul_f32_e32 v48, v25, v40
	v_div_scale_f32 v29, s[2:3], v21, s31, v21
	v_div_scale_f32 v34, s[8:9], s31, s31, v4
	v_fmac_f32_e32 v42, v50, v42
	v_mul_f32_e32 v49, v27, v41
	v_fma_f32 v56, -v24, v48, v25
	v_lshlrev_b32_e32 v23, 16, v5
	v_rcp_f32_e32 v45, v34
	v_fma_f32 v51, -v30, v43, 1.0
	v_mul_f32_e32 v50, v29, v42
	v_fma_f32 v57, -v26, v49, v27
	v_fmac_f32_e32 v48, v56, v40
	v_div_scale_f32 v31, s[4:5], v3, s31, v3
	v_div_scale_f32 v36, s[10:11], s31, s31, v23
	v_fmac_f32_e32 v43, v51, v43
	v_fma_f32 v58, -v28, v50, v29
	v_fmac_f32_e32 v49, v57, v41
	v_fma_f32 v24, -v24, v48, v25
	v_and_b32_e32 v5, 0xffff0000, v5
	v_rcp_f32_e32 v46, v36
	v_fma_f32 v52, -v32, v44, 1.0
	v_mul_f32_e32 v51, v31, v43
	v_fmac_f32_e32 v50, v58, v42
	v_fma_f32 v25, -v26, v49, v27
	v_div_fmas_f32 v24, v24, v40, v48
	s_mov_b64 vcc, s[0:1]
	v_div_scale_f32 v33, s[6:7], v22, s31, v22
	v_div_scale_f32 v38, s[12:13], s31, s31, v5
	v_fmac_f32_e32 v44, v52, v44
	v_fma_f32 v59, -v30, v51, v31
	v_fma_f32 v26, -v28, v50, v29
	v_div_fixup_f32 v20, v24, s31, v20
	v_div_fmas_f32 v24, v25, v41, v49
	s_mov_b64 vcc, s[2:3]
	v_rcp_f32_e32 v47, v38
	v_fma_f32 v53, -v34, v45, 1.0
	v_mul_f32_e32 v52, v33, v44
	v_fmac_f32_e32 v51, v59, v43
	v_med3_f32 v25, v20, s35, v1
	v_div_fixup_f32 v2, v24, s31, v2
	v_div_fmas_f32 v24, v26, v42, v50
	v_cmp_nlg_f32_e64 vcc, |v20|, s34
	v_div_scale_f32 v35, s[8:9], v4, s31, v4
	v_fmac_f32_e32 v45, v53, v45
	v_fma_f32 v60, -v32, v52, v33
	v_fma_f32 v27, -v30, v51, v31
	v_cndmask_b32_e32 v20, v25, v20, vcc
	s_mov_b64 vcc, s[4:5]
	v_fma_f32 v54, -v36, v46, 1.0
	v_mul_f32_e32 v53, v35, v45
	v_fmac_f32_e32 v52, v60, v44
	v_med3_f32 v25, v2, s35, v1
	v_div_fixup_f32 v21, v24, s31, v21
	v_div_fmas_f32 v24, v27, v43, v51
	v_cmp_nlg_f32_e64 vcc, |v2|, s34
	v_div_scale_f32 v37, s[10:11], v23, s31, v23
	v_fmac_f32_e32 v46, v54, v46
	v_fma_f32 v56, -v34, v53, v35
	v_fma_f32 v28, -v32, v52, v33
	v_cndmask_b32_e32 v2, v25, v2, vcc
	s_mov_b64 vcc, s[6:7]
	v_fma_f32 v55, -v38, v47, 1.0
	v_mul_f32_e32 v54, v37, v46
	v_fmac_f32_e32 v53, v56, v45
	v_cvt_pk_fp8_f32 v12, v20, v20
	v_med3_f32 v20, v21, s35, v1
	v_div_fixup_f32 v3, v24, s31, v3
	v_div_fmas_f32 v24, v28, v44, v52
	v_cmp_nlg_f32_e64 vcc, |v21|, s34
	v_div_scale_f32 v39, s[12:13], v5, s31, v5
	v_fmac_f32_e32 v47, v55, v47
	v_fma_f32 v57, -v36, v54, v37
	v_fma_f32 v29, -v34, v53, v35
	v_cvt_pk_fp8_f32 v13, v2, v2
	v_cndmask_b32_e32 v2, v20, v21, vcc
	s_mov_b64 vcc, s[8:9]
	v_mul_f32_e32 v55, v39, v47
	v_fmac_f32_e32 v54, v57, v46
	v_med3_f32 v20, v3, s35, v1
	v_div_fixup_f32 v21, v24, s31, v22
	v_div_fmas_f32 v22, v29, v45, v53
	v_cmp_nlg_f32_e64 vcc, |v3|, s34
	v_fma_f32 v58, -v38, v55, v39
	v_fma_f32 v30, -v36, v54, v37
	v_cvt_pk_fp8_f32 v14, v2, v2
	v_cndmask_b32_e32 v2, v20, v3, vcc
	s_mov_b64 vcc, s[10:11]
	v_fmac_f32_e32 v55, v58, v47
	v_med3_f32 v3, v21, s35, v1
	v_div_fmas_f32 v20, v30, v46, v54
	v_cmp_nlg_f32_e64 vcc, |v21|, s34
	v_fma_f32 v31, -v38, v55, v39
	v_div_fixup_f32 v4, v22, s31, v4
	v_cvt_pk_fp8_f32 v15, v2, v2
	v_cndmask_b32_e32 v2, v3, v21, vcc
	s_mov_b64 vcc, s[12:13]
	v_med3_f32 v3, v4, s35, v1
	v_div_fixup_f32 v20, v20, s31, v23
	v_div_fmas_f32 v21, v31, v47, v55
	v_cmp_nlg_f32_e64 vcc, |v4|, s34
	v_cvt_pk_fp8_f32 v16, v2, v2
	s_nop 0
	v_cndmask_b32_e32 v2, v3, v4, vcc
	v_med3_f32 v3, v20, s35, v1
	v_div_fixup_f32 v4, v21, s31, v5
	v_cmp_nlg_f32_e64 vcc, |v20|, s34
	v_cvt_pk_fp8_f32 v17, v2, v2
	v_and_b32_e32 v5, 0xff, v12
	v_cndmask_b32_e32 v2, v3, v20, vcc
	v_med3_f32 v3, v4, s35, v1
	v_cmp_nlg_f32_e64 vcc, |v4|, s34
	v_cvt_pk_fp8_f32 v18, v2, v2
	v_lshlrev_b32_e32 v12, 8, v13
	v_cndmask_b32_e32 v2, v3, v4, vcc
	v_cvt_pk_fp8_f32 v19, v2, v2
	v_lshlrev_b32_e32 v3, 16, v14
	v_and_b32_e32 v4, 0xff00, v12
	v_perm_b32 v2, v15, v3, s40
	v_or3_b32 v2, v2, v4, v5
	v_and_b32_e32 v5, 0xff, v18
	v_lshlrev_b32_e32 v12, 24, v19
	v_lshlrev_b32_e32 v5, 16, v5
	v_and_b32_e32 v3, 0xff, v16
	v_lshlrev_b32_sdwa v4, v10, v17 dst_sel:DWORD dst_unused:UNUSED_PAD src0_sel:DWORD src1_sel:BYTE_0
	v_or_b32_e32 v5, v12, v5
	v_or3_b32 v3, v5, v4, v3
	global_store_dwordx2 v[6:7], v[2:3], off
	v_lshl_add_u64 v[6:7], v[6:7], 0, s[38:39]
	s_andn2_b64 exec, exec, s[20:21]
	s_cbranch_execnz .LBB12_54
.LBB12_55:
	s_or_b64 exec, exec, s[36:37]
.LBB12_56:
	s_and_b32 s0, s30, 15
	s_mov_b32 s1, 0
	s_cmp_lg_u64 s[0:1], 0
	s_cselect_b64 s[2:3], -1, 0
	s_xor_b64 s[4:5], s[26:27], -1
	s_or_b64 s[2:3], s[4:5], s[2:3]
	s_mov_b64 s[0:1], -1
	s_and_b64 vcc, exec, s[2:3]
	s_cbranch_vccz .LBB12_67
; %bb.57:
	s_sub_i32 s0, 0, s30
	s_bfe_u32 s0, s0, 0x30001
	s_min_i32 s16, s0, s47
	v_cmp_gt_i32_e32 vcc, s16, v0
	s_and_saveexec_b64 s[0:1], vcc
	s_cbranch_execz .LBB12_60
; %bb.58:
	v_mov_b32_e32 v1, 0
	s_add_u32 s2, s18, s14
	s_mov_b32 s25, 0
	v_lshlrev_b32_e32 v2, 1, v0
	v_mov_b32_e32 v3, v1
	s_addc_u32 s3, s19, s15
	v_lshl_add_u64 v[2:3], s[2:3], 0, v[2:3]
	s_lshl_b32 s2, s24, 1
	s_mov_b32 s3, s25
	s_mov_b64 s[4:5], 0
	s_mov_b32 s6, 0x7f800000
	s_mov_b32 s7, 0x43700000
	v_mov_b32_e32 v6, 0xc3700000
	v_mov_b64_e32 v[4:5], v[0:1]
.LBB12_59:                              ; =>This Inner Loop Header: Depth=1
	global_load_ushort v1, v[2:3], off
	v_mov_b32_e32 v7, 0
	v_lshl_add_u64 v[8:9], s[28:29], 0, v[4:5]
	v_lshl_add_u64 v[4:5], v[4:5], 0, s[24:25]
	;; [unrolled: 1-line block ×3, first 2 shown]
	s_waitcnt vmcnt(0)
	v_lshlrev_b32_e32 v1, 16, v1
	v_div_scale_f32 v10, s[8:9], s46, s46, v1
	v_rcp_f32_e32 v11, v10
	v_div_scale_f32 v12, vcc, v1, s46, v1
	v_fma_f32 v13, -v10, v11, 1.0
	v_fmac_f32_e32 v11, v13, v11
	v_mul_f32_e32 v13, v12, v11
	v_fma_f32 v14, -v10, v13, v12
	v_fmac_f32_e32 v13, v14, v11
	v_fma_f32 v10, -v10, v13, v12
	v_div_fmas_f32 v10, v10, v11, v13
	v_div_fixup_f32 v1, v10, s46, v1
	v_med3_f32 v10, v1, s7, v6
	v_cmp_nlg_f32_e64 vcc, |v1|, s6
	s_nop 1
	v_cndmask_b32_e32 v1, v10, v1, vcc
	v_cvt_pk_fp8_f32 v7, v1, v1
	v_cmp_le_i32_e32 vcc, s16, v4
	s_or_b64 s[4:5], vcc, s[4:5]
	global_store_byte v[8:9], v7, off
	s_andn2_b64 exec, exec, s[4:5]
	s_cbranch_execnz .LBB12_59
.LBB12_60:
	s_or_b64 exec, exec, s[0:1]
	s_sub_i32 s25, s47, s16
	s_ashr_i32 s0, s25, 31
	s_lshr_b32 s0, s0, 29
	s_add_i32 s0, s25, s0
	s_ashr_i32 s34, s0, 3
	s_ashr_i32 s17, s16, 31
	v_cmp_gt_i32_e32 vcc, s34, v0
	s_and_saveexec_b64 s[20:21], vcc
	s_cbranch_execz .LBB12_63
; %bb.61:
	s_add_u32 s0, s16, s56
	s_addc_u32 s1, s17, s33
	s_add_u32 s0, s0, s58
	s_addc_u32 s1, s1, s57
	s_add_u32 s0, s22, s0
	v_lshlrev_b32_e32 v2, 3, v0
	v_mov_b32_e32 v3, 0
	s_addc_u32 s1, s23, s1
	v_lshl_add_u64 v[6:7], s[0:1], 0, v[2:3]
	s_lshl_b32 s26, s24, 3
	s_lshl_b64 s[0:1], s[16:17], 1
	s_add_u32 s0, s18, s0
	s_addc_u32 s1, s19, s1
	s_add_u32 s0, s0, s14
	s_mov_b32 s27, 0
	v_lshlrev_b32_e32 v2, 4, v0
	s_addc_u32 s1, s1, s15
	v_lshl_add_u64 v[8:9], s[0:1], 0, v[2:3]
	s_lshl_b32 s28, s24, 4
	s_mov_b32 s29, s27
	s_mov_b64 s[30:31], 0
	s_mov_b32 s35, 0x7f800000
	s_mov_b32 s36, 0x43700000
	v_mov_b32_e32 v1, 0xc3700000
	s_mov_b32 s37, 0x4020c0c
	v_mov_b32_e32 v10, 8
	v_mov_b32_e32 v11, v0
.LBB12_62:                              ; =>This Inner Loop Header: Depth=1
	global_load_dwordx4 v[2:5], v[8:9], off
	v_add_u32_e32 v11, s24, v11
	v_cmp_le_i32_e32 vcc, s34, v11
	s_or_b64 s[30:31], vcc, s[30:31]
	v_mov_b32_e32 v12, 0
	v_mov_b32_e32 v13, 0
	;; [unrolled: 1-line block ×8, first 2 shown]
	v_lshl_add_u64 v[8:9], v[8:9], 0, s[28:29]
	s_waitcnt vmcnt(0)
	v_lshlrev_b32_e32 v20, 16, v2
	v_and_b32_e32 v2, 0xffff0000, v2
	v_div_scale_f32 v24, s[0:1], s46, s46, v20
	v_lshlrev_b32_e32 v21, 16, v3
	v_div_scale_f32 v26, s[0:1], s46, s46, v2
	v_rcp_f32_e32 v40, v24
	v_div_scale_f32 v28, s[2:3], s46, s46, v21
	v_rcp_f32_e32 v41, v26
	v_and_b32_e32 v3, 0xffff0000, v3
	v_rcp_f32_e32 v42, v28
	v_div_scale_f32 v30, s[4:5], s46, s46, v3
	v_lshlrev_b32_e32 v22, 16, v4
	v_rcp_f32_e32 v43, v30
	v_fma_f32 v48, -v24, v40, 1.0
	v_div_scale_f32 v25, vcc, v20, s46, v20
	v_div_scale_f32 v32, s[6:7], s46, s46, v22
	v_fma_f32 v49, -v26, v41, 1.0
	v_fmac_f32_e32 v40, v48, v40
	v_and_b32_e32 v4, 0xffff0000, v4
	v_div_scale_f32 v27, s[0:1], v2, s46, v2
	v_rcp_f32_e32 v44, v32
	v_fma_f32 v50, -v28, v42, 1.0
	v_fmac_f32_e32 v41, v49, v41
	v_mul_f32_e32 v48, v25, v40
	v_div_scale_f32 v29, s[2:3], v21, s46, v21
	v_div_scale_f32 v34, s[8:9], s46, s46, v4
	v_fmac_f32_e32 v42, v50, v42
	v_mul_f32_e32 v49, v27, v41
	v_fma_f32 v56, -v24, v48, v25
	v_lshlrev_b32_e32 v23, 16, v5
	v_rcp_f32_e32 v45, v34
	v_fma_f32 v51, -v30, v43, 1.0
	v_mul_f32_e32 v50, v29, v42
	v_fma_f32 v57, -v26, v49, v27
	v_fmac_f32_e32 v48, v56, v40
	v_div_scale_f32 v31, s[4:5], v3, s46, v3
	v_div_scale_f32 v36, s[10:11], s46, s46, v23
	v_fmac_f32_e32 v43, v51, v43
	v_fma_f32 v58, -v28, v50, v29
	v_fmac_f32_e32 v49, v57, v41
	v_fma_f32 v24, -v24, v48, v25
	v_and_b32_e32 v5, 0xffff0000, v5
	v_rcp_f32_e32 v46, v36
	v_fma_f32 v52, -v32, v44, 1.0
	v_mul_f32_e32 v51, v31, v43
	v_fmac_f32_e32 v50, v58, v42
	v_fma_f32 v25, -v26, v49, v27
	v_div_fmas_f32 v24, v24, v40, v48
	s_mov_b64 vcc, s[0:1]
	v_div_scale_f32 v33, s[6:7], v22, s46, v22
	v_div_scale_f32 v38, s[12:13], s46, s46, v5
	v_fmac_f32_e32 v44, v52, v44
	v_fma_f32 v59, -v30, v51, v31
	v_fma_f32 v26, -v28, v50, v29
	v_div_fixup_f32 v20, v24, s46, v20
	v_div_fmas_f32 v24, v25, v41, v49
	s_mov_b64 vcc, s[2:3]
	v_rcp_f32_e32 v47, v38
	v_fma_f32 v53, -v34, v45, 1.0
	v_mul_f32_e32 v52, v33, v44
	v_fmac_f32_e32 v51, v59, v43
	v_med3_f32 v25, v20, s36, v1
	v_div_fixup_f32 v2, v24, s46, v2
	v_div_fmas_f32 v24, v26, v42, v50
	v_cmp_nlg_f32_e64 vcc, |v20|, s35
	v_div_scale_f32 v35, s[8:9], v4, s46, v4
	v_fmac_f32_e32 v45, v53, v45
	v_fma_f32 v60, -v32, v52, v33
	v_fma_f32 v27, -v30, v51, v31
	v_cndmask_b32_e32 v20, v25, v20, vcc
	s_mov_b64 vcc, s[4:5]
	v_fma_f32 v54, -v36, v46, 1.0
	v_mul_f32_e32 v53, v35, v45
	v_fmac_f32_e32 v52, v60, v44
	v_med3_f32 v25, v2, s36, v1
	v_div_fixup_f32 v21, v24, s46, v21
	v_div_fmas_f32 v24, v27, v43, v51
	v_cmp_nlg_f32_e64 vcc, |v2|, s35
	v_div_scale_f32 v37, s[10:11], v23, s46, v23
	v_fmac_f32_e32 v46, v54, v46
	v_fma_f32 v56, -v34, v53, v35
	v_fma_f32 v28, -v32, v52, v33
	v_cndmask_b32_e32 v2, v25, v2, vcc
	s_mov_b64 vcc, s[6:7]
	v_fma_f32 v55, -v38, v47, 1.0
	v_mul_f32_e32 v54, v37, v46
	v_fmac_f32_e32 v53, v56, v45
	v_cvt_pk_fp8_f32 v12, v20, v20
	v_med3_f32 v20, v21, s36, v1
	v_div_fixup_f32 v3, v24, s46, v3
	v_div_fmas_f32 v24, v28, v44, v52
	v_cmp_nlg_f32_e64 vcc, |v21|, s35
	v_div_scale_f32 v39, s[12:13], v5, s46, v5
	v_fmac_f32_e32 v47, v55, v47
	v_fma_f32 v57, -v36, v54, v37
	v_fma_f32 v29, -v34, v53, v35
	v_cvt_pk_fp8_f32 v13, v2, v2
	v_cndmask_b32_e32 v2, v20, v21, vcc
	s_mov_b64 vcc, s[8:9]
	v_mul_f32_e32 v55, v39, v47
	v_fmac_f32_e32 v54, v57, v46
	v_med3_f32 v20, v3, s36, v1
	v_div_fixup_f32 v21, v24, s46, v22
	v_div_fmas_f32 v22, v29, v45, v53
	v_cmp_nlg_f32_e64 vcc, |v3|, s35
	v_fma_f32 v58, -v38, v55, v39
	v_fma_f32 v30, -v36, v54, v37
	v_cvt_pk_fp8_f32 v14, v2, v2
	v_cndmask_b32_e32 v2, v20, v3, vcc
	s_mov_b64 vcc, s[10:11]
	v_fmac_f32_e32 v55, v58, v47
	v_med3_f32 v3, v21, s36, v1
	v_div_fmas_f32 v20, v30, v46, v54
	v_cmp_nlg_f32_e64 vcc, |v21|, s35
	v_fma_f32 v31, -v38, v55, v39
	v_div_fixup_f32 v4, v22, s46, v4
	v_cvt_pk_fp8_f32 v15, v2, v2
	v_cndmask_b32_e32 v2, v3, v21, vcc
	s_mov_b64 vcc, s[12:13]
	v_med3_f32 v3, v4, s36, v1
	v_div_fixup_f32 v20, v20, s46, v23
	v_div_fmas_f32 v21, v31, v47, v55
	v_cmp_nlg_f32_e64 vcc, |v4|, s35
	v_cvt_pk_fp8_f32 v16, v2, v2
	s_nop 0
	v_cndmask_b32_e32 v2, v3, v4, vcc
	v_med3_f32 v3, v20, s36, v1
	v_div_fixup_f32 v4, v21, s46, v5
	v_cmp_nlg_f32_e64 vcc, |v20|, s35
	v_cvt_pk_fp8_f32 v17, v2, v2
	v_and_b32_e32 v5, 0xff, v12
	v_cndmask_b32_e32 v2, v3, v20, vcc
	v_med3_f32 v3, v4, s36, v1
	v_cmp_nlg_f32_e64 vcc, |v4|, s35
	v_cvt_pk_fp8_f32 v18, v2, v2
	v_lshlrev_b32_e32 v12, 8, v13
	v_cndmask_b32_e32 v2, v3, v4, vcc
	v_cvt_pk_fp8_f32 v19, v2, v2
	v_lshlrev_b32_e32 v3, 16, v14
	v_and_b32_e32 v4, 0xff00, v12
	v_perm_b32 v2, v15, v3, s37
	v_or3_b32 v2, v2, v4, v5
	v_and_b32_e32 v5, 0xff, v18
	v_lshlrev_b32_e32 v12, 24, v19
	v_lshlrev_b32_e32 v5, 16, v5
	v_and_b32_e32 v3, 0xff, v16
	v_lshlrev_b32_sdwa v4, v10, v17 dst_sel:DWORD dst_unused:UNUSED_PAD src0_sel:DWORD src1_sel:BYTE_0
	v_or_b32_e32 v5, v12, v5
	v_or3_b32 v3, v5, v4, v3
	global_store_dwordx2 v[6:7], v[2:3], off
	v_lshl_add_u64 v[6:7], v[6:7], 0, s[26:27]
	s_andn2_b64 exec, exec, s[30:31]
	s_cbranch_execnz .LBB12_62
.LBB12_63:
	s_or_b64 exec, exec, s[20:21]
	v_lshl_add_u32 v2, s34, 3, v0
	v_cmp_gt_i32_e32 vcc, s25, v2
	s_and_saveexec_b64 s[0:1], vcc
	s_cbranch_execz .LBB12_66
; %bb.64:
	s_lshl_b64 s[4:5], s[16:17], 1
	s_add_u32 s2, s14, s4
	s_addc_u32 s5, s15, s5
	s_add_u32 s4, s18, s2
	v_ashrrev_i32_e32 v3, 31, v2
	s_addc_u32 s5, s19, s5
	s_lshl_b32 s2, s24, 1
	v_lshl_add_u64 v[4:5], v[2:3], 1, s[4:5]
	s_add_u32 s4, s16, s56
	s_addc_u32 s5, s17, s33
	s_add_u32 s4, s4, s58
	s_addc_u32 s5, s5, s57
	;; [unrolled: 2-line block ×3, first 2 shown]
	s_mov_b32 s3, 0
	v_lshl_add_u64 v[6:7], s[4:5], 0, v[2:3]
	s_mov_b64 s[4:5], 0
	s_mov_b32 s8, 0x7f800000
	s_mov_b32 s9, 0x43700000
	v_mov_b32_e32 v1, 0xc3700000
	s_mov_b64 s[6:7], 0
.LBB12_65:                              ; =>This Inner Loop Header: Depth=1
	global_load_ushort v3, v[4:5], off
	v_mov_b32_e32 v10, 0
	v_lshl_add_u64 v[8:9], v[6:7], 0, s[6:7]
	s_add_u32 s6, s6, s24
	s_addc_u32 s7, s7, 0
	v_lshl_add_u64 v[4:5], v[4:5], 0, s[2:3]
	s_waitcnt vmcnt(0)
	v_lshlrev_b32_e32 v3, 16, v3
	v_div_scale_f32 v11, s[10:11], s46, s46, v3
	v_rcp_f32_e32 v12, v11
	v_div_scale_f32 v13, vcc, v3, s46, v3
	v_fma_f32 v14, -v11, v12, 1.0
	v_fmac_f32_e32 v12, v14, v12
	v_mul_f32_e32 v14, v13, v12
	v_fma_f32 v15, -v11, v14, v13
	v_fmac_f32_e32 v14, v15, v12
	v_fma_f32 v11, -v11, v14, v13
	v_div_fmas_f32 v11, v11, v12, v14
	v_div_fixup_f32 v3, v11, s46, v3
	v_med3_f32 v11, v3, s9, v1
	v_cmp_nlg_f32_e64 vcc, |v3|, s8
	s_nop 1
	v_cndmask_b32_e32 v3, v11, v3, vcc
	v_cvt_pk_fp8_f32 v10, v3, v3
	v_add_u32_e32 v3, s6, v2
	v_cmp_le_i32_e32 vcc, s25, v3
	s_or_b64 s[4:5], vcc, s[4:5]
	global_store_byte v[8:9], v10, off
	s_andn2_b64 exec, exec, s[4:5]
	s_cbranch_execnz .LBB12_65
.LBB12_66:
	s_or_b64 exec, exec, s[0:1]
	s_mov_b64 s[0:1], 0
.LBB12_67:
	s_and_b64 vcc, exec, s[0:1]
	s_cbranch_vccz .LBB12_71
; %bb.68:
	s_ashr_i32 s20, s47, 3
	v_cmp_gt_i32_e32 vcc, s20, v0
	s_and_saveexec_b64 s[0:1], vcc
	s_cbranch_execz .LBB12_71
; %bb.69:
	s_add_u32 s0, s56, s58
	s_addc_u32 s1, s33, s57
	s_add_u32 s0, s22, s0
	v_lshlrev_b32_e32 v2, 3, v0
	v_mov_b32_e32 v3, 0
	s_addc_u32 s1, s23, s1
	s_lshl_b32 s16, s24, 3
	v_lshl_add_u64 v[6:7], s[0:1], 0, v[2:3]
	s_add_u32 s0, s18, s14
	s_mov_b32 s17, 0
	v_lshlrev_b32_e32 v2, 4, v0
	s_addc_u32 s1, s19, s15
	v_lshl_add_u64 v[8:9], s[0:1], 0, v[2:3]
	s_lshl_b32 s14, s24, 4
	s_mov_b32 s15, s17
	s_mov_b64 s[18:19], 0
	s_mov_b32 s21, 0x7f800000
	s_mov_b32 s22, 0x43700000
	v_mov_b32_e32 v1, 0xc3700000
	s_mov_b32 s23, 0x4020c0c
	v_mov_b32_e32 v10, 8
.LBB12_70:                              ; =>This Inner Loop Header: Depth=1
	global_load_dwordx4 v[2:5], v[8:9], off
	v_add_u32_e32 v0, s24, v0
	v_cmp_le_i32_e32 vcc, s20, v0
	s_or_b64 s[18:19], vcc, s[18:19]
	v_mov_b32_e32 v11, 0
	v_mov_b32_e32 v12, 0
	v_mov_b32_e32 v13, 0
	v_mov_b32_e32 v14, 0
	v_mov_b32_e32 v15, 0
	v_mov_b32_e32 v16, 0
	v_mov_b32_e32 v17, 0
	v_mov_b32_e32 v18, 0
	v_lshl_add_u64 v[8:9], v[8:9], 0, s[14:15]
	s_waitcnt vmcnt(0)
	v_lshlrev_b32_e32 v19, 16, v2
	v_and_b32_e32 v2, 0xffff0000, v2
	v_div_scale_f32 v23, s[0:1], s46, s46, v19
	v_lshlrev_b32_e32 v20, 16, v3
	v_div_scale_f32 v25, s[0:1], s46, s46, v2
	v_rcp_f32_e32 v39, v23
	v_div_scale_f32 v27, s[2:3], s46, s46, v20
	v_rcp_f32_e32 v40, v25
	v_and_b32_e32 v3, 0xffff0000, v3
	v_rcp_f32_e32 v41, v27
	v_div_scale_f32 v29, s[4:5], s46, s46, v3
	v_lshlrev_b32_e32 v21, 16, v4
	v_rcp_f32_e32 v42, v29
	v_fma_f32 v47, -v23, v39, 1.0
	v_div_scale_f32 v24, vcc, v19, s46, v19
	v_div_scale_f32 v31, s[6:7], s46, s46, v21
	v_fma_f32 v48, -v25, v40, 1.0
	v_fmac_f32_e32 v39, v47, v39
	v_and_b32_e32 v4, 0xffff0000, v4
	v_div_scale_f32 v26, s[0:1], v2, s46, v2
	v_rcp_f32_e32 v43, v31
	v_fma_f32 v49, -v27, v41, 1.0
	v_fmac_f32_e32 v40, v48, v40
	v_mul_f32_e32 v47, v24, v39
	v_div_scale_f32 v28, s[2:3], v20, s46, v20
	v_div_scale_f32 v33, s[8:9], s46, s46, v4
	v_fmac_f32_e32 v41, v49, v41
	v_mul_f32_e32 v48, v26, v40
	v_fma_f32 v55, -v23, v47, v24
	v_lshlrev_b32_e32 v22, 16, v5
	v_rcp_f32_e32 v44, v33
	v_fma_f32 v50, -v29, v42, 1.0
	v_mul_f32_e32 v49, v28, v41
	v_fma_f32 v56, -v25, v48, v26
	v_fmac_f32_e32 v47, v55, v39
	v_div_scale_f32 v30, s[4:5], v3, s46, v3
	v_div_scale_f32 v35, s[10:11], s46, s46, v22
	v_fmac_f32_e32 v42, v50, v42
	v_fma_f32 v57, -v27, v49, v28
	v_fmac_f32_e32 v48, v56, v40
	v_fma_f32 v23, -v23, v47, v24
	v_and_b32_e32 v5, 0xffff0000, v5
	v_rcp_f32_e32 v45, v35
	v_fma_f32 v51, -v31, v43, 1.0
	v_mul_f32_e32 v50, v30, v42
	v_fmac_f32_e32 v49, v57, v41
	v_fma_f32 v24, -v25, v48, v26
	v_div_fmas_f32 v23, v23, v39, v47
	s_mov_b64 vcc, s[0:1]
	v_div_scale_f32 v32, s[6:7], v21, s46, v21
	v_div_scale_f32 v37, s[12:13], s46, s46, v5
	v_fmac_f32_e32 v43, v51, v43
	v_fma_f32 v58, -v29, v50, v30
	v_fma_f32 v25, -v27, v49, v28
	v_div_fixup_f32 v19, v23, s46, v19
	v_div_fmas_f32 v23, v24, v40, v48
	s_mov_b64 vcc, s[2:3]
	v_rcp_f32_e32 v46, v37
	v_fma_f32 v52, -v33, v44, 1.0
	v_mul_f32_e32 v51, v32, v43
	v_fmac_f32_e32 v50, v58, v42
	v_med3_f32 v24, v19, s22, v1
	v_div_fixup_f32 v2, v23, s46, v2
	v_div_fmas_f32 v23, v25, v41, v49
	v_cmp_nlg_f32_e64 vcc, |v19|, s21
	v_div_scale_f32 v34, s[8:9], v4, s46, v4
	v_fmac_f32_e32 v44, v52, v44
	v_fma_f32 v55, -v31, v51, v32
	v_fma_f32 v26, -v29, v50, v30
	v_cndmask_b32_e32 v19, v24, v19, vcc
	s_mov_b64 vcc, s[4:5]
	v_fma_f32 v53, -v35, v45, 1.0
	v_mul_f32_e32 v52, v34, v44
	v_fmac_f32_e32 v51, v55, v43
	v_med3_f32 v24, v2, s22, v1
	v_div_fixup_f32 v20, v23, s46, v20
	v_div_fmas_f32 v23, v26, v42, v50
	v_cmp_nlg_f32_e64 vcc, |v2|, s21
	v_div_scale_f32 v36, s[10:11], v22, s46, v22
	v_fmac_f32_e32 v45, v53, v45
	v_fma_f32 v56, -v33, v52, v34
	v_fma_f32 v27, -v31, v51, v32
	v_cndmask_b32_e32 v2, v24, v2, vcc
	s_mov_b64 vcc, s[6:7]
	v_fma_f32 v54, -v37, v46, 1.0
	v_mul_f32_e32 v53, v36, v45
	v_fmac_f32_e32 v52, v56, v44
	v_cvt_pk_fp8_f32 v11, v19, v19
	v_med3_f32 v19, v20, s22, v1
	v_div_fixup_f32 v3, v23, s46, v3
	v_div_fmas_f32 v23, v27, v43, v51
	v_cmp_nlg_f32_e64 vcc, |v20|, s21
	v_div_scale_f32 v38, s[12:13], v5, s46, v5
	v_fmac_f32_e32 v46, v54, v46
	v_fma_f32 v57, -v35, v53, v36
	v_fma_f32 v28, -v33, v52, v34
	v_cvt_pk_fp8_f32 v12, v2, v2
	v_cndmask_b32_e32 v2, v19, v20, vcc
	s_mov_b64 vcc, s[8:9]
	v_mul_f32_e32 v54, v38, v46
	v_fmac_f32_e32 v53, v57, v45
	v_med3_f32 v19, v3, s22, v1
	v_div_fixup_f32 v20, v23, s46, v21
	v_div_fmas_f32 v21, v28, v44, v52
	v_cmp_nlg_f32_e64 vcc, |v3|, s21
	v_fma_f32 v58, -v37, v54, v38
	v_fma_f32 v29, -v35, v53, v36
	v_cvt_pk_fp8_f32 v13, v2, v2
	v_cndmask_b32_e32 v2, v19, v3, vcc
	s_mov_b64 vcc, s[10:11]
	v_fmac_f32_e32 v54, v58, v46
	v_med3_f32 v3, v20, s22, v1
	v_div_fmas_f32 v19, v29, v45, v53
	v_cmp_nlg_f32_e64 vcc, |v20|, s21
	v_fma_f32 v30, -v37, v54, v38
	v_div_fixup_f32 v4, v21, s46, v4
	v_cvt_pk_fp8_f32 v14, v2, v2
	v_cndmask_b32_e32 v2, v3, v20, vcc
	s_mov_b64 vcc, s[12:13]
	v_med3_f32 v3, v4, s22, v1
	v_div_fixup_f32 v19, v19, s46, v22
	v_div_fmas_f32 v20, v30, v46, v54
	v_cmp_nlg_f32_e64 vcc, |v4|, s21
	v_cvt_pk_fp8_f32 v15, v2, v2
	s_nop 0
	v_cndmask_b32_e32 v2, v3, v4, vcc
	v_med3_f32 v3, v19, s22, v1
	v_div_fixup_f32 v4, v20, s46, v5
	v_cmp_nlg_f32_e64 vcc, |v19|, s21
	v_cvt_pk_fp8_f32 v16, v2, v2
	v_and_b32_e32 v5, 0xff, v11
	v_cndmask_b32_e32 v2, v3, v19, vcc
	v_med3_f32 v3, v4, s22, v1
	v_cmp_nlg_f32_e64 vcc, |v4|, s21
	v_cvt_pk_fp8_f32 v17, v2, v2
	v_lshlrev_b32_e32 v11, 8, v12
	v_cndmask_b32_e32 v2, v3, v4, vcc
	v_cvt_pk_fp8_f32 v18, v2, v2
	v_lshlrev_b32_e32 v3, 16, v13
	v_and_b32_e32 v4, 0xff00, v11
	v_perm_b32 v2, v14, v3, s23
	v_or3_b32 v2, v2, v4, v5
	v_and_b32_e32 v5, 0xff, v17
	v_lshlrev_b32_e32 v11, 24, v18
	v_lshlrev_b32_e32 v5, 16, v5
	v_and_b32_e32 v3, 0xff, v15
	v_lshlrev_b32_sdwa v4, v10, v16 dst_sel:DWORD dst_unused:UNUSED_PAD src0_sel:DWORD src1_sel:BYTE_0
	v_or_b32_e32 v5, v11, v5
	v_or3_b32 v3, v5, v4, v3
	global_store_dwordx2 v[6:7], v[2:3], off
	v_lshl_add_u64 v[6:7], v[6:7], 0, s[16:17]
	s_andn2_b64 exec, exec, s[18:19]
	s_cbranch_execnz .LBB12_70
.LBB12_71:
	s_endpgm
.LBB12_72:
                                        ; implicit-def: $sgpr36_sgpr37
	s_branch .LBB12_3
	.section	.rodata,"a",@progbits
	.p2align	6, 0x0
	.amdhsa_kernel _ZN4vllm30reshape_and_cache_flash_kernelI14__hip_bfloat16hLNS_18Fp8KVCacheDataTypeE1EEEvPKT_S5_PT0_S7_PKlllllliiiPKfSB_i
		.amdhsa_group_segment_fixed_size 0
		.amdhsa_private_segment_fixed_size 0
		.amdhsa_kernarg_size 376
		.amdhsa_user_sgpr_count 2
		.amdhsa_user_sgpr_dispatch_ptr 0
		.amdhsa_user_sgpr_queue_ptr 0
		.amdhsa_user_sgpr_kernarg_segment_ptr 1
		.amdhsa_user_sgpr_dispatch_id 0
		.amdhsa_user_sgpr_kernarg_preload_length 0
		.amdhsa_user_sgpr_kernarg_preload_offset 0
		.amdhsa_user_sgpr_private_segment_size 0
		.amdhsa_uses_dynamic_stack 0
		.amdhsa_enable_private_segment 0
		.amdhsa_system_sgpr_workgroup_id_x 1
		.amdhsa_system_sgpr_workgroup_id_y 0
		.amdhsa_system_sgpr_workgroup_id_z 0
		.amdhsa_system_sgpr_workgroup_info 0
		.amdhsa_system_vgpr_workitem_id 0
		.amdhsa_next_free_vgpr 61
		.amdhsa_next_free_sgpr 68
		.amdhsa_accum_offset 64
		.amdhsa_reserve_vcc 1
		.amdhsa_float_round_mode_32 0
		.amdhsa_float_round_mode_16_64 0
		.amdhsa_float_denorm_mode_32 3
		.amdhsa_float_denorm_mode_16_64 3
		.amdhsa_dx10_clamp 1
		.amdhsa_ieee_mode 1
		.amdhsa_fp16_overflow 0
		.amdhsa_tg_split 0
		.amdhsa_exception_fp_ieee_invalid_op 0
		.amdhsa_exception_fp_denorm_src 0
		.amdhsa_exception_fp_ieee_div_zero 0
		.amdhsa_exception_fp_ieee_overflow 0
		.amdhsa_exception_fp_ieee_underflow 0
		.amdhsa_exception_fp_ieee_inexact 0
		.amdhsa_exception_int_div_zero 0
	.end_amdhsa_kernel
	.section	.text._ZN4vllm30reshape_and_cache_flash_kernelI14__hip_bfloat16hLNS_18Fp8KVCacheDataTypeE1EEEvPKT_S5_PT0_S7_PKlllllliiiPKfSB_i,"axG",@progbits,_ZN4vllm30reshape_and_cache_flash_kernelI14__hip_bfloat16hLNS_18Fp8KVCacheDataTypeE1EEEvPKT_S5_PT0_S7_PKlllllliiiPKfSB_i,comdat
.Lfunc_end12:
	.size	_ZN4vllm30reshape_and_cache_flash_kernelI14__hip_bfloat16hLNS_18Fp8KVCacheDataTypeE1EEEvPKT_S5_PT0_S7_PKlllllliiiPKfSB_i, .Lfunc_end12-_ZN4vllm30reshape_and_cache_flash_kernelI14__hip_bfloat16hLNS_18Fp8KVCacheDataTypeE1EEEvPKT_S5_PT0_S7_PKlllllliiiPKfSB_i
                                        ; -- End function
	.section	.AMDGPU.csdata,"",@progbits
; Kernel info:
; codeLenInByte = 12988
; NumSgprs: 74
; NumVgprs: 61
; NumAgprs: 0
; TotalNumVgprs: 61
; ScratchSize: 0
; MemoryBound: 0
; FloatMode: 240
; IeeeMode: 1
; LDSByteSize: 0 bytes/workgroup (compile time only)
; SGPRBlocks: 9
; VGPRBlocks: 7
; NumSGPRsForWavesPerEU: 74
; NumVGPRsForWavesPerEU: 61
; AccumOffset: 64
; Occupancy: 8
; WaveLimiterHint : 0
; COMPUTE_PGM_RSRC2:SCRATCH_EN: 0
; COMPUTE_PGM_RSRC2:USER_SGPR: 2
; COMPUTE_PGM_RSRC2:TRAP_HANDLER: 0
; COMPUTE_PGM_RSRC2:TGID_X_EN: 1
; COMPUTE_PGM_RSRC2:TGID_Y_EN: 0
; COMPUTE_PGM_RSRC2:TGID_Z_EN: 0
; COMPUTE_PGM_RSRC2:TIDIG_COMP_CNT: 0
; COMPUTE_PGM_RSRC3_GFX90A:ACCUM_OFFSET: 15
; COMPUTE_PGM_RSRC3_GFX90A:TG_SPLIT: 0
	.section	.text._ZN4vllm30concat_and_cache_ds_mla_kernelIffLNS_18Fp8KVCacheDataTypeE0EEEvPKT_S4_PT0_PKliiiiiiiPKf,"axG",@progbits,_ZN4vllm30concat_and_cache_ds_mla_kernelIffLNS_18Fp8KVCacheDataTypeE0EEEvPKT_S4_PT0_PKliiiiiiiPKf,comdat
	.protected	_ZN4vllm30concat_and_cache_ds_mla_kernelIffLNS_18Fp8KVCacheDataTypeE0EEEvPKT_S4_PT0_PKliiiiiiiPKf ; -- Begin function _ZN4vllm30concat_and_cache_ds_mla_kernelIffLNS_18Fp8KVCacheDataTypeE0EEEvPKT_S4_PT0_PKliiiiiiiPKf
	.globl	_ZN4vllm30concat_and_cache_ds_mla_kernelIffLNS_18Fp8KVCacheDataTypeE0EEEvPKT_S4_PT0_PKliiiiiiiPKf
	.p2align	8
	.type	_ZN4vllm30concat_and_cache_ds_mla_kernelIffLNS_18Fp8KVCacheDataTypeE0EEEvPKT_S4_PT0_PKliiiiiiiPKf,@function
_ZN4vllm30concat_and_cache_ds_mla_kernelIffLNS_18Fp8KVCacheDataTypeE0EEEvPKT_S4_PT0_PKliiiiiiiPKf: ; @_ZN4vllm30concat_and_cache_ds_mla_kernelIffLNS_18Fp8KVCacheDataTypeE0EEEvPKT_S4_PT0_PKliiiiiiiPKf
; %bb.0:
	s_load_dwordx2 s[4:5], s[0:1], 0x18
	s_mov_b32 s3, 0
	s_lshl_b64 s[6:7], s[2:3], 3
	s_waitcnt lgkmcnt(0)
	s_add_u32 s4, s4, s6
	s_addc_u32 s5, s5, s7
	s_load_dwordx2 s[10:11], s[4:5], 0x0
	s_waitcnt lgkmcnt(0)
	v_cmp_lt_i64_e64 s[4:5], s[10:11], 0
	s_and_b64 vcc, exec, s[4:5]
	s_cbranch_vccnz .LBB13_10
; %bb.1:
	s_load_dword s12, s[0:1], 0x38
	s_load_dwordx2 s[8:9], s[0:1], 0x10
	s_waitcnt lgkmcnt(0)
	s_ashr_i32 s13, s12, 31
	s_or_b64 s[4:5], s[10:11], s[12:13]
	s_mov_b32 s4, s3
	s_cmp_lg_u64 s[4:5], 0
	s_cbranch_scc0 .LBB13_11
; %bb.2:
	s_add_u32 s4, s12, s13
	s_mov_b32 s14, s13
	s_mov_b32 s15, s13
	s_addc_u32 s5, s13, s13
	s_xor_b64 s[16:17], s[4:5], s[14:15]
	v_cvt_f32_u32_e32 v1, s16
	v_cvt_f32_u32_e32 v2, s17
	s_sub_u32 s3, 0, s16
	s_subb_u32 s4, 0, s17
	v_fmamk_f32 v1, v2, 0x4f800000, v1
	v_rcp_f32_e32 v1, v1
	s_nop 0
	v_mul_f32_e32 v1, 0x5f7ffffc, v1
	v_mul_f32_e32 v2, 0x2f800000, v1
	v_trunc_f32_e32 v2, v2
	v_fmamk_f32 v1, v2, 0xcf800000, v1
	v_cvt_u32_f32_e32 v2, v2
	v_cvt_u32_f32_e32 v1, v1
	v_readfirstlane_b32 s5, v2
	v_readfirstlane_b32 s18, v1
	s_mul_i32 s19, s3, s5
	s_mul_hi_u32 s21, s3, s18
	s_mul_i32 s20, s4, s18
	s_add_i32 s19, s21, s19
	s_add_i32 s19, s19, s20
	s_mul_i32 s22, s3, s18
	s_mul_hi_u32 s20, s18, s19
	s_mul_i32 s21, s18, s19
	s_mul_hi_u32 s18, s18, s22
	s_add_u32 s18, s18, s21
	s_addc_u32 s20, 0, s20
	s_mul_hi_u32 s23, s5, s22
	s_mul_i32 s22, s5, s22
	s_add_u32 s18, s18, s22
	s_mul_hi_u32 s21, s5, s19
	s_addc_u32 s18, s20, s23
	s_addc_u32 s20, s21, 0
	s_mul_i32 s19, s5, s19
	s_add_u32 s18, s18, s19
	s_addc_u32 s19, 0, s20
	v_add_co_u32_e32 v1, vcc, s18, v1
	s_cmp_lg_u64 vcc, 0
	s_addc_u32 s5, s5, s19
	v_readfirstlane_b32 s19, v1
	s_mul_i32 s18, s3, s5
	s_mul_hi_u32 s20, s3, s19
	s_add_i32 s18, s20, s18
	s_mul_i32 s4, s4, s19
	s_add_i32 s18, s18, s4
	s_mul_i32 s3, s3, s19
	s_mul_hi_u32 s20, s5, s3
	s_mul_i32 s21, s5, s3
	s_mul_i32 s23, s19, s18
	s_mul_hi_u32 s3, s19, s3
	s_mul_hi_u32 s22, s19, s18
	s_add_u32 s3, s3, s23
	s_addc_u32 s19, 0, s22
	s_add_u32 s3, s3, s21
	s_mul_hi_u32 s4, s5, s18
	s_addc_u32 s3, s19, s20
	s_addc_u32 s4, s4, 0
	s_mul_i32 s18, s5, s18
	s_add_u32 s3, s3, s18
	s_addc_u32 s4, 0, s4
	v_add_co_u32_e32 v1, vcc, s3, v1
	s_cmp_lg_u64 vcc, 0
	s_addc_u32 s3, s5, s4
	s_ashr_i32 s18, s11, 31
	s_add_u32 s4, s10, s18
	s_mov_b32 s19, s18
	s_addc_u32 s5, s11, s18
	s_xor_b64 s[20:21], s[4:5], s[18:19]
	v_readfirstlane_b32 s22, v1
	s_mul_i32 s5, s20, s3
	s_mul_hi_u32 s23, s20, s22
	s_mul_hi_u32 s4, s20, s3
	s_add_u32 s5, s23, s5
	s_addc_u32 s4, 0, s4
	s_mul_hi_u32 s24, s21, s22
	s_mul_i32 s22, s21, s22
	s_add_u32 s5, s5, s22
	s_mul_hi_u32 s23, s21, s3
	s_addc_u32 s4, s4, s24
	s_addc_u32 s5, s23, 0
	s_mul_i32 s3, s21, s3
	s_add_u32 s3, s4, s3
	s_addc_u32 s22, 0, s5
	s_mul_i32 s4, s16, s22
	s_mul_hi_u32 s5, s16, s3
	s_add_i32 s4, s5, s4
	s_mul_i32 s5, s17, s3
	s_add_i32 s23, s4, s5
	s_mul_i32 s5, s16, s3
	v_mov_b32_e32 v1, s5
	s_sub_i32 s4, s21, s23
	v_sub_co_u32_e32 v1, vcc, s20, v1
	s_cmp_lg_u64 vcc, 0
	s_subb_u32 s20, s4, s17
	v_subrev_co_u32_e64 v2, s[4:5], s16, v1
	s_cmp_lg_u64 s[4:5], 0
	s_subb_u32 s4, s20, 0
	s_cmp_ge_u32 s4, s17
	v_readfirstlane_b32 s20, v2
	s_cselect_b32 s5, -1, 0
	s_cmp_ge_u32 s20, s16
	s_cselect_b32 s20, -1, 0
	s_cmp_eq_u32 s4, s17
	s_cselect_b32 s4, s20, s5
	s_add_u32 s5, s3, 1
	s_addc_u32 s20, s22, 0
	s_add_u32 s24, s3, 2
	s_addc_u32 s25, s22, 0
	s_cmp_lg_u32 s4, 0
	s_cselect_b32 s4, s24, s5
	s_cselect_b32 s5, s25, s20
	s_cmp_lg_u64 vcc, 0
	s_subb_u32 s20, s21, s23
	s_cmp_ge_u32 s20, s17
	v_readfirstlane_b32 s23, v1
	s_cselect_b32 s21, -1, 0
	s_cmp_ge_u32 s23, s16
	s_cselect_b32 s16, -1, 0
	s_cmp_eq_u32 s20, s17
	s_cselect_b32 s16, s16, s21
	s_cmp_lg_u32 s16, 0
	s_cselect_b32 s5, s5, s22
	s_cselect_b32 s4, s4, s3
	s_xor_b64 s[14:15], s[18:19], s[14:15]
	s_xor_b64 s[4:5], s[4:5], s[14:15]
	s_sub_u32 s14, s4, s14
	s_subb_u32 s15, s5, s15
	s_cbranch_execnz .LBB13_4
.LBB13_3:
	v_cvt_f32_u32_e32 v1, s12
	s_sub_i32 s3, 0, s12
	s_mov_b32 s15, 0
	v_rcp_iflag_f32_e32 v1, v1
	s_nop 0
	v_mul_f32_e32 v1, 0x4f7ffffe, v1
	v_cvt_u32_f32_e32 v1, v1
	s_nop 0
	v_readfirstlane_b32 s4, v1
	s_mul_i32 s3, s3, s4
	s_mul_hi_u32 s3, s4, s3
	s_add_i32 s4, s4, s3
	s_mul_hi_u32 s3, s10, s4
	s_mul_i32 s5, s3, s12
	s_sub_i32 s5, s10, s5
	s_add_i32 s4, s3, 1
	s_sub_i32 s6, s5, s12
	s_cmp_ge_u32 s5, s12
	s_cselect_b32 s3, s4, s3
	s_cselect_b32 s5, s6, s5
	s_add_i32 s4, s3, 1
	s_cmp_ge_u32 s5, s12
	s_cselect_b32 s14, s4, s3
.LBB13_4:
	s_load_dwordx4 s[4:7], s[0:1], 0x20
	s_load_dword s3, s[0:1], 0x30
	s_mul_i32 s13, s14, s13
	s_mul_hi_u32 s16, s14, s12
	s_add_i32 s13, s16, s13
	s_mul_i32 s16, s15, s12
	s_add_i32 s13, s13, s16
	s_mul_i32 s12, s14, s12
	s_sub_u32 s12, s10, s12
	s_subb_u32 s13, s11, s13
	s_waitcnt lgkmcnt(0)
	s_ashr_i32 s10, s4, 31
	s_mul_hi_u32 s11, s14, s4
	s_mul_i32 s10, s14, s10
	s_add_i32 s10, s11, s10
	s_mul_i32 s11, s15, s4
	s_add_i32 s11, s10, s11
	s_mul_i32 s10, s14, s4
	s_ashr_i32 s4, s5, 31
	s_mul_i32 s4, s12, s4
	s_mul_hi_u32 s14, s12, s5
	s_add_i32 s4, s14, s4
	s_mul_i32 s13, s13, s5
	s_add_i32 s13, s4, s13
	s_mul_i32 s12, s12, s5
	s_lshl_b64 s[4:5], s[10:11], 2
	s_add_u32 s8, s8, s4
	s_addc_u32 s9, s9, s5
	s_lshl_b64 s[4:5], s[12:13], 2
	s_add_u32 s4, s8, s4
	s_addc_u32 s5, s9, s5
	v_cmp_gt_u32_e32 vcc, 64, v0
	s_and_saveexec_b64 s[8:9], vcc
	s_xor_b64 s[8:9], exec, s[8:9]
	s_cbranch_execz .LBB13_8
; %bb.5:
	s_load_dwordx2 s[10:11], s[0:1], 0x0
	s_ashr_i32 s12, s6, 31
	s_mul_hi_u32 s13, s6, s2
	s_mul_i32 s12, s12, s2
	s_add_i32 s13, s13, s12
	s_mul_i32 s12, s6, s2
	s_lshl_b64 s[12:13], s[12:13], 2
	s_waitcnt lgkmcnt(0)
	s_add_u32 s10, s10, s12
	s_addc_u32 s11, s11, s13
	v_lshlrev_b32_e32 v1, 5, v0
	global_load_dwordx4 v[2:5], v1, s[10:11]
	v_mbcnt_lo_u32_b32 v1, -1, 0
	v_mbcnt_hi_u32_b32 v1, -1, v1
	v_and_b32_e32 v6, 0x70, v1
	v_xor_b32_e32 v7, 8, v1
	v_add_u32_e32 v6, 16, v6
	v_cmp_lt_i32_e32 vcc, v7, v6
	s_mov_b32 s6, 0x43600000
	v_and_b32_e32 v10, 15, v0
	v_cndmask_b32_e32 v7, v1, v7, vcc
	v_lshlrev_b32_e32 v7, 2, v7
	s_waitcnt vmcnt(0)
	v_max_f32_e64 v8, |v5|, |v5|
	v_max_f32_e64 v9, |v4|, |v4|
	v_max_f32_e32 v8, v9, v8
	v_max3_f32 v8, |v2|, |v3|, v8
	ds_bpermute_b32 v7, v7, v8
	v_xor_b32_e32 v9, 4, v1
	v_cmp_lt_i32_e32 vcc, v9, v6
	s_waitcnt lgkmcnt(0)
	v_max_f32_e32 v7, v7, v7
	v_cndmask_b32_e32 v9, v1, v9, vcc
	v_lshlrev_b32_e32 v9, 2, v9
	v_max_f32_e32 v7, v8, v7
	ds_bpermute_b32 v8, v9, v7
	v_xor_b32_e32 v9, 2, v1
	v_cmp_lt_i32_e32 vcc, v9, v6
	s_waitcnt lgkmcnt(0)
	v_max_f32_e32 v8, v8, v8
	v_cndmask_b32_e32 v9, v1, v9, vcc
	v_lshlrev_b32_e32 v9, 2, v9
	v_max_f32_e32 v7, v7, v8
	;; [unrolled: 8-line block ×3, first 2 shown]
	ds_bpermute_b32 v8, v1, v7
	v_lshlrev_b32_e32 v1, 3, v0
	v_mov_b32_e32 v6, 0
	s_waitcnt lgkmcnt(0)
	v_max_f32_e32 v8, v8, v8
	v_max_f32_e32 v7, v7, v8
	v_div_scale_f32 v8, s[10:11], s6, s6, v7
	v_rcp_f32_e32 v9, v8
	v_div_scale_f32 v11, vcc, v7, s6, v7
	v_fma_f32 v12, -v8, v9, 1.0
	v_fmac_f32_e32 v9, v12, v9
	v_mul_f32_e32 v12, v11, v9
	v_fma_f32 v13, -v8, v12, v11
	v_fmac_f32_e32 v12, v13, v9
	v_fma_f32 v8, -v8, v12, v11
	v_div_fmas_f32 v8, v8, v9, v12
	v_div_fixup_f32 v7, v8, s6, v7
	v_max_f32_e32 v7, 0x800000, v7
	v_cmp_eq_u32_e32 vcc, 0, v10
	s_and_saveexec_b64 s[10:11], vcc
	s_cbranch_execz .LBB13_7
; %bb.6:
	s_ashr_i32 s6, s3, 31
	s_lshr_b32 s6, s6, 30
	s_add_i32 s6, s3, s6
	v_lshrrev_b32_e32 v0, 4, v0
	s_ashr_i32 s6, s6, 2
	v_add_u32_e32 v8, s6, v0
	v_ashrrev_i32_e32 v9, 31, v8
	v_lshl_add_u64 v[8:9], v[8:9], 2, s[4:5]
	global_store_dword v[8:9], v7, off
.LBB13_7:
	s_or_b64 exec, exec, s[10:11]
	v_div_scale_f32 v0, s[10:11], v7, v7, v2
	v_rcp_f32_e32 v8, v0
	v_div_scale_f32 v9, vcc, v2, v7, v2
	s_mov_b32 s6, 0x7f800000
	v_fma_f32 v10, -v0, v8, 1.0
	v_fmac_f32_e32 v8, v10, v8
	v_mul_f32_e32 v10, v9, v8
	v_fma_f32 v11, -v0, v10, v9
	v_fmac_f32_e32 v10, v11, v8
	v_fma_f32 v0, -v0, v10, v9
	v_div_scale_f32 v9, s[10:11], v7, v7, v3
	v_div_fmas_f32 v0, v0, v8, v10
	v_rcp_f32_e32 v10, v9
	v_div_fixup_f32 v0, v0, v7, v2
	s_mov_b32 s12, 0x43700000
	v_mov_b32_e32 v2, 0xc3700000
	v_med3_f32 v8, v0, s12, v2
	v_cmp_nlg_f32_e64 vcc, |v0|, s6
	s_nop 1
	v_cndmask_b32_e32 v0, v8, v0, vcc
	v_mov_b32_e32 v8, 0
	v_cvt_pk_fp8_f32 v8, v0, v0
	v_fma_f32 v0, -v9, v10, 1.0
	v_fmac_f32_e32 v10, v0, v10
	v_div_scale_f32 v0, vcc, v3, v7, v3
	v_mul_f32_e32 v11, v0, v10
	v_fma_f32 v12, -v9, v11, v0
	v_fmac_f32_e32 v11, v12, v10
	v_fma_f32 v0, -v9, v11, v0
	v_div_scale_f32 v9, s[10:11], v7, v7, v4
	v_div_fmas_f32 v0, v0, v10, v11
	v_rcp_f32_e32 v10, v9
	v_div_fixup_f32 v0, v0, v7, v3
	v_med3_f32 v3, v0, s12, v2
	v_cmp_nlg_f32_e64 vcc, |v0|, s6
	s_nop 1
	v_cndmask_b32_e32 v0, v3, v0, vcc
	v_mov_b32_e32 v3, 0
	v_cvt_pk_fp8_f32 v3, v0, v0
	v_fma_f32 v0, -v9, v10, 1.0
	v_fmac_f32_e32 v10, v0, v10
	v_div_scale_f32 v0, vcc, v4, v7, v4
	v_mul_f32_e32 v11, v0, v10
	v_fma_f32 v12, -v9, v11, v0
	v_fmac_f32_e32 v11, v12, v10
	v_fma_f32 v0, -v9, v11, v0
	v_div_scale_f32 v9, s[10:11], v7, v7, v5
	v_div_fmas_f32 v0, v0, v10, v11
	v_rcp_f32_e32 v10, v9
	v_div_fixup_f32 v0, v0, v7, v4
	v_med3_f32 v4, v0, s12, v2
	v_cmp_nlg_f32_e64 vcc, |v0|, s6
	s_nop 1
	v_cndmask_b32_e32 v0, v4, v0, vcc
	v_mov_b32_e32 v4, 0
	v_cvt_pk_fp8_f32 v4, v0, v0
	v_fma_f32 v0, -v9, v10, 1.0
	v_fmac_f32_e32 v10, v0, v10
	v_div_scale_f32 v0, vcc, v5, v7, v5
	v_mul_f32_e32 v11, v0, v10
	v_fma_f32 v12, -v9, v11, v0
	v_fmac_f32_e32 v11, v12, v10
	v_fma_f32 v0, -v9, v11, v0
	v_div_fmas_f32 v0, v0, v10, v11
	v_div_fixup_f32 v0, v0, v7, v5
	v_med3_f32 v2, v0, s12, v2
	v_cmp_nlg_f32_e64 vcc, |v0|, s6
	s_nop 1
	v_cndmask_b32_e32 v0, v2, v0, vcc
	v_mov_b32_e32 v2, 0
	v_cvt_pk_fp8_f32 v2, v0, v0
	v_cvt_pk_fp8_f32 v6, s0, v0
	v_lshlrev_b16_e32 v0, 8, v3
	v_or_b32_sdwa v0, v8, v0 dst_sel:DWORD dst_unused:UNUSED_PAD src0_sel:BYTE_0 src1_sel:DWORD
	v_lshlrev_b16_e32 v2, 8, v2
	v_or_b32_sdwa v2, v4, v2 dst_sel:WORD_1 dst_unused:UNUSED_PAD src0_sel:BYTE_0 src1_sel:DWORD
	s_nop 0
	v_or_b32_sdwa v2, v0, v2 dst_sel:DWORD dst_unused:UNUSED_PAD src0_sel:WORD_0 src1_sel:DWORD
	v_lshlrev_b16_e32 v0, 8, v6
	v_or_b32_sdwa v0, v6, v0 dst_sel:DWORD dst_unused:UNUSED_PAD src0_sel:BYTE_0 src1_sel:DWORD
	v_lshlrev_b32_e32 v3, 16, v0
	v_or_b32_sdwa v3, v0, v3 dst_sel:DWORD dst_unused:UNUSED_PAD src0_sel:WORD_0 src1_sel:DWORD
	v_lshlrev_b32_e32 v0, 2, v1
	global_store_dwordx2 v0, v[2:3], s[4:5]
                                        ; implicit-def: $vgpr0
.LBB13_8:
	s_andn2_saveexec_b64 s[8:9], s[8:9]
	s_cbranch_execz .LBB13_10
; %bb.9:
	s_load_dwordx2 s[0:1], s[0:1], 0x8
	s_ashr_i32 s6, s7, 31
	s_mul_hi_u32 s8, s7, s2
	s_mul_i32 s6, s6, s2
	v_lshlrev_b16_e32 v0, 1, v0
	s_add_i32 s9, s8, s6
	s_mul_i32 s8, s7, s2
	v_xor_b32_e32 v0, 0x80, v0
	s_lshl_b64 s[6:7], s[8:9], 2
	v_bfe_i32 v0, v0, 0, 8
	s_waitcnt lgkmcnt(0)
	s_add_u32 s0, s0, s6
	v_ashrrev_i32_e32 v1, 31, v0
	s_addc_u32 s1, s1, s7
	v_lshl_add_u64 v[2:3], v[0:1], 2, s[0:1]
	global_load_dword v2, v[2:3], off
	s_lshr_b32 s0, s3, 31
	s_add_i32 s3, s3, s0
	s_ashr_i32 s0, s3, 1
	s_ashr_i32 s1, s0, 31
	v_lshl_add_u64 v[0:1], v[0:1], 0, s[0:1]
	v_lshl_add_u64 v[0:1], v[0:1], 2, s[4:5]
	s_waitcnt vmcnt(0)
	global_store_dword v[0:1], v2, off offset:32
.LBB13_10:
	s_endpgm
.LBB13_11:
                                        ; implicit-def: $sgpr14_sgpr15
	s_branch .LBB13_3
	.section	.rodata,"a",@progbits
	.p2align	6, 0x0
	.amdhsa_kernel _ZN4vllm30concat_and_cache_ds_mla_kernelIffLNS_18Fp8KVCacheDataTypeE0EEEvPKT_S4_PT0_PKliiiiiiiPKf
		.amdhsa_group_segment_fixed_size 0
		.amdhsa_private_segment_fixed_size 0
		.amdhsa_kernarg_size 72
		.amdhsa_user_sgpr_count 2
		.amdhsa_user_sgpr_dispatch_ptr 0
		.amdhsa_user_sgpr_queue_ptr 0
		.amdhsa_user_sgpr_kernarg_segment_ptr 1
		.amdhsa_user_sgpr_dispatch_id 0
		.amdhsa_user_sgpr_kernarg_preload_length 0
		.amdhsa_user_sgpr_kernarg_preload_offset 0
		.amdhsa_user_sgpr_private_segment_size 0
		.amdhsa_uses_dynamic_stack 0
		.amdhsa_enable_private_segment 0
		.amdhsa_system_sgpr_workgroup_id_x 1
		.amdhsa_system_sgpr_workgroup_id_y 0
		.amdhsa_system_sgpr_workgroup_id_z 0
		.amdhsa_system_sgpr_workgroup_info 0
		.amdhsa_system_vgpr_workitem_id 0
		.amdhsa_next_free_vgpr 14
		.amdhsa_next_free_sgpr 26
		.amdhsa_accum_offset 16
		.amdhsa_reserve_vcc 1
		.amdhsa_float_round_mode_32 0
		.amdhsa_float_round_mode_16_64 0
		.amdhsa_float_denorm_mode_32 3
		.amdhsa_float_denorm_mode_16_64 3
		.amdhsa_dx10_clamp 1
		.amdhsa_ieee_mode 1
		.amdhsa_fp16_overflow 0
		.amdhsa_tg_split 0
		.amdhsa_exception_fp_ieee_invalid_op 0
		.amdhsa_exception_fp_denorm_src 0
		.amdhsa_exception_fp_ieee_div_zero 0
		.amdhsa_exception_fp_ieee_overflow 0
		.amdhsa_exception_fp_ieee_underflow 0
		.amdhsa_exception_fp_ieee_inexact 0
		.amdhsa_exception_int_div_zero 0
	.end_amdhsa_kernel
	.section	.text._ZN4vllm30concat_and_cache_ds_mla_kernelIffLNS_18Fp8KVCacheDataTypeE0EEEvPKT_S4_PT0_PKliiiiiiiPKf,"axG",@progbits,_ZN4vllm30concat_and_cache_ds_mla_kernelIffLNS_18Fp8KVCacheDataTypeE0EEEvPKT_S4_PT0_PKliiiiiiiPKf,comdat
.Lfunc_end13:
	.size	_ZN4vllm30concat_and_cache_ds_mla_kernelIffLNS_18Fp8KVCacheDataTypeE0EEEvPKT_S4_PT0_PKliiiiiiiPKf, .Lfunc_end13-_ZN4vllm30concat_and_cache_ds_mla_kernelIffLNS_18Fp8KVCacheDataTypeE0EEEvPKT_S4_PT0_PKliiiiiiiPKf
                                        ; -- End function
	.section	.AMDGPU.csdata,"",@progbits
; Kernel info:
; codeLenInByte = 1988
; NumSgprs: 32
; NumVgprs: 14
; NumAgprs: 0
; TotalNumVgprs: 14
; ScratchSize: 0
; MemoryBound: 0
; FloatMode: 240
; IeeeMode: 1
; LDSByteSize: 0 bytes/workgroup (compile time only)
; SGPRBlocks: 3
; VGPRBlocks: 1
; NumSGPRsForWavesPerEU: 32
; NumVGPRsForWavesPerEU: 14
; AccumOffset: 16
; Occupancy: 8
; WaveLimiterHint : 0
; COMPUTE_PGM_RSRC2:SCRATCH_EN: 0
; COMPUTE_PGM_RSRC2:USER_SGPR: 2
; COMPUTE_PGM_RSRC2:TRAP_HANDLER: 0
; COMPUTE_PGM_RSRC2:TGID_X_EN: 1
; COMPUTE_PGM_RSRC2:TGID_Y_EN: 0
; COMPUTE_PGM_RSRC2:TGID_Z_EN: 0
; COMPUTE_PGM_RSRC2:TIDIG_COMP_CNT: 0
; COMPUTE_PGM_RSRC3_GFX90A:ACCUM_OFFSET: 3
; COMPUTE_PGM_RSRC3_GFX90A:TG_SPLIT: 0
	.section	.text._ZN4vllm30concat_and_cache_ds_mla_kernelIttLNS_18Fp8KVCacheDataTypeE0EEEvPKT_S4_PT0_PKliiiiiiiPKf,"axG",@progbits,_ZN4vllm30concat_and_cache_ds_mla_kernelIttLNS_18Fp8KVCacheDataTypeE0EEEvPKT_S4_PT0_PKliiiiiiiPKf,comdat
	.protected	_ZN4vllm30concat_and_cache_ds_mla_kernelIttLNS_18Fp8KVCacheDataTypeE0EEEvPKT_S4_PT0_PKliiiiiiiPKf ; -- Begin function _ZN4vllm30concat_and_cache_ds_mla_kernelIttLNS_18Fp8KVCacheDataTypeE0EEEvPKT_S4_PT0_PKliiiiiiiPKf
	.globl	_ZN4vllm30concat_and_cache_ds_mla_kernelIttLNS_18Fp8KVCacheDataTypeE0EEEvPKT_S4_PT0_PKliiiiiiiPKf
	.p2align	8
	.type	_ZN4vllm30concat_and_cache_ds_mla_kernelIttLNS_18Fp8KVCacheDataTypeE0EEEvPKT_S4_PT0_PKliiiiiiiPKf,@function
_ZN4vllm30concat_and_cache_ds_mla_kernelIttLNS_18Fp8KVCacheDataTypeE0EEEvPKT_S4_PT0_PKliiiiiiiPKf: ; @_ZN4vllm30concat_and_cache_ds_mla_kernelIttLNS_18Fp8KVCacheDataTypeE0EEEvPKT_S4_PT0_PKliiiiiiiPKf
; %bb.0:
	s_load_dwordx2 s[4:5], s[0:1], 0x18
	s_mov_b32 s3, 0
	s_lshl_b64 s[6:7], s[2:3], 3
	s_waitcnt lgkmcnt(0)
	s_add_u32 s4, s4, s6
	s_addc_u32 s5, s5, s7
	s_load_dwordx2 s[10:11], s[4:5], 0x0
	s_waitcnt lgkmcnt(0)
	v_cmp_lt_i64_e64 s[4:5], s[10:11], 0
	s_and_b64 vcc, exec, s[4:5]
	s_cbranch_vccnz .LBB14_10
; %bb.1:
	s_load_dword s12, s[0:1], 0x38
	s_load_dwordx2 s[8:9], s[0:1], 0x10
	s_waitcnt lgkmcnt(0)
	s_ashr_i32 s13, s12, 31
	s_or_b64 s[4:5], s[10:11], s[12:13]
	s_mov_b32 s4, s3
	s_cmp_lg_u64 s[4:5], 0
	s_cbranch_scc0 .LBB14_11
; %bb.2:
	s_add_u32 s4, s12, s13
	s_mov_b32 s14, s13
	s_mov_b32 s15, s13
	s_addc_u32 s5, s13, s13
	s_xor_b64 s[16:17], s[4:5], s[14:15]
	v_cvt_f32_u32_e32 v1, s16
	v_cvt_f32_u32_e32 v2, s17
	s_sub_u32 s3, 0, s16
	s_subb_u32 s4, 0, s17
	v_fmamk_f32 v1, v2, 0x4f800000, v1
	v_rcp_f32_e32 v1, v1
	s_nop 0
	v_mul_f32_e32 v1, 0x5f7ffffc, v1
	v_mul_f32_e32 v2, 0x2f800000, v1
	v_trunc_f32_e32 v2, v2
	v_fmamk_f32 v1, v2, 0xcf800000, v1
	v_cvt_u32_f32_e32 v2, v2
	v_cvt_u32_f32_e32 v1, v1
	v_readfirstlane_b32 s5, v2
	v_readfirstlane_b32 s18, v1
	s_mul_i32 s19, s3, s5
	s_mul_hi_u32 s21, s3, s18
	s_mul_i32 s20, s4, s18
	s_add_i32 s19, s21, s19
	s_add_i32 s19, s19, s20
	s_mul_i32 s22, s3, s18
	s_mul_hi_u32 s20, s18, s19
	s_mul_i32 s21, s18, s19
	s_mul_hi_u32 s18, s18, s22
	s_add_u32 s18, s18, s21
	s_addc_u32 s20, 0, s20
	s_mul_hi_u32 s23, s5, s22
	s_mul_i32 s22, s5, s22
	s_add_u32 s18, s18, s22
	s_mul_hi_u32 s21, s5, s19
	s_addc_u32 s18, s20, s23
	s_addc_u32 s20, s21, 0
	s_mul_i32 s19, s5, s19
	s_add_u32 s18, s18, s19
	s_addc_u32 s19, 0, s20
	v_add_co_u32_e32 v1, vcc, s18, v1
	s_cmp_lg_u64 vcc, 0
	s_addc_u32 s5, s5, s19
	v_readfirstlane_b32 s19, v1
	s_mul_i32 s18, s3, s5
	s_mul_hi_u32 s20, s3, s19
	s_add_i32 s18, s20, s18
	s_mul_i32 s4, s4, s19
	s_add_i32 s18, s18, s4
	s_mul_i32 s3, s3, s19
	s_mul_hi_u32 s20, s5, s3
	s_mul_i32 s21, s5, s3
	s_mul_i32 s23, s19, s18
	s_mul_hi_u32 s3, s19, s3
	s_mul_hi_u32 s22, s19, s18
	s_add_u32 s3, s3, s23
	s_addc_u32 s19, 0, s22
	s_add_u32 s3, s3, s21
	s_mul_hi_u32 s4, s5, s18
	s_addc_u32 s3, s19, s20
	s_addc_u32 s4, s4, 0
	s_mul_i32 s18, s5, s18
	s_add_u32 s3, s3, s18
	s_addc_u32 s4, 0, s4
	v_add_co_u32_e32 v1, vcc, s3, v1
	s_cmp_lg_u64 vcc, 0
	s_addc_u32 s3, s5, s4
	s_ashr_i32 s18, s11, 31
	s_add_u32 s4, s10, s18
	s_mov_b32 s19, s18
	s_addc_u32 s5, s11, s18
	s_xor_b64 s[20:21], s[4:5], s[18:19]
	v_readfirstlane_b32 s22, v1
	s_mul_i32 s5, s20, s3
	s_mul_hi_u32 s23, s20, s22
	s_mul_hi_u32 s4, s20, s3
	s_add_u32 s5, s23, s5
	s_addc_u32 s4, 0, s4
	s_mul_hi_u32 s24, s21, s22
	s_mul_i32 s22, s21, s22
	s_add_u32 s5, s5, s22
	s_mul_hi_u32 s23, s21, s3
	s_addc_u32 s4, s4, s24
	s_addc_u32 s5, s23, 0
	s_mul_i32 s3, s21, s3
	s_add_u32 s3, s4, s3
	s_addc_u32 s22, 0, s5
	s_mul_i32 s4, s16, s22
	s_mul_hi_u32 s5, s16, s3
	s_add_i32 s4, s5, s4
	s_mul_i32 s5, s17, s3
	s_add_i32 s23, s4, s5
	s_mul_i32 s5, s16, s3
	v_mov_b32_e32 v1, s5
	s_sub_i32 s4, s21, s23
	v_sub_co_u32_e32 v1, vcc, s20, v1
	s_cmp_lg_u64 vcc, 0
	s_subb_u32 s20, s4, s17
	v_subrev_co_u32_e64 v2, s[4:5], s16, v1
	s_cmp_lg_u64 s[4:5], 0
	s_subb_u32 s4, s20, 0
	s_cmp_ge_u32 s4, s17
	v_readfirstlane_b32 s20, v2
	s_cselect_b32 s5, -1, 0
	s_cmp_ge_u32 s20, s16
	s_cselect_b32 s20, -1, 0
	s_cmp_eq_u32 s4, s17
	s_cselect_b32 s4, s20, s5
	s_add_u32 s5, s3, 1
	s_addc_u32 s20, s22, 0
	s_add_u32 s24, s3, 2
	s_addc_u32 s25, s22, 0
	s_cmp_lg_u32 s4, 0
	s_cselect_b32 s4, s24, s5
	s_cselect_b32 s5, s25, s20
	s_cmp_lg_u64 vcc, 0
	s_subb_u32 s20, s21, s23
	s_cmp_ge_u32 s20, s17
	v_readfirstlane_b32 s23, v1
	s_cselect_b32 s21, -1, 0
	s_cmp_ge_u32 s23, s16
	s_cselect_b32 s16, -1, 0
	s_cmp_eq_u32 s20, s17
	s_cselect_b32 s16, s16, s21
	s_cmp_lg_u32 s16, 0
	s_cselect_b32 s5, s5, s22
	s_cselect_b32 s4, s4, s3
	s_xor_b64 s[14:15], s[18:19], s[14:15]
	s_xor_b64 s[4:5], s[4:5], s[14:15]
	s_sub_u32 s14, s4, s14
	s_subb_u32 s15, s5, s15
	s_cbranch_execnz .LBB14_4
.LBB14_3:
	v_cvt_f32_u32_e32 v1, s12
	s_sub_i32 s3, 0, s12
	s_mov_b32 s15, 0
	v_rcp_iflag_f32_e32 v1, v1
	s_nop 0
	v_mul_f32_e32 v1, 0x4f7ffffe, v1
	v_cvt_u32_f32_e32 v1, v1
	s_nop 0
	v_readfirstlane_b32 s4, v1
	s_mul_i32 s3, s3, s4
	s_mul_hi_u32 s3, s4, s3
	s_add_i32 s4, s4, s3
	s_mul_hi_u32 s3, s10, s4
	s_mul_i32 s5, s3, s12
	s_sub_i32 s5, s10, s5
	s_add_i32 s4, s3, 1
	s_sub_i32 s6, s5, s12
	s_cmp_ge_u32 s5, s12
	s_cselect_b32 s3, s4, s3
	s_cselect_b32 s5, s6, s5
	s_add_i32 s4, s3, 1
	s_cmp_ge_u32 s5, s12
	s_cselect_b32 s14, s4, s3
.LBB14_4:
	s_load_dwordx4 s[4:7], s[0:1], 0x20
	s_load_dword s3, s[0:1], 0x30
	s_mul_i32 s13, s14, s13
	s_mul_hi_u32 s16, s14, s12
	s_add_i32 s13, s16, s13
	s_mul_i32 s16, s15, s12
	s_add_i32 s13, s13, s16
	s_mul_i32 s12, s14, s12
	s_sub_u32 s12, s10, s12
	s_subb_u32 s13, s11, s13
	s_waitcnt lgkmcnt(0)
	s_ashr_i32 s10, s4, 31
	s_mul_hi_u32 s11, s14, s4
	s_mul_i32 s10, s14, s10
	s_add_i32 s10, s11, s10
	s_mul_i32 s11, s15, s4
	s_add_i32 s11, s10, s11
	s_mul_i32 s10, s14, s4
	s_ashr_i32 s4, s5, 31
	s_mul_i32 s4, s12, s4
	s_mul_hi_u32 s14, s12, s5
	s_add_i32 s4, s14, s4
	s_mul_i32 s13, s13, s5
	s_add_i32 s13, s4, s13
	s_mul_i32 s12, s12, s5
	s_lshl_b64 s[4:5], s[10:11], 1
	s_add_u32 s8, s8, s4
	s_addc_u32 s9, s9, s5
	s_lshl_b64 s[4:5], s[12:13], 1
	s_add_u32 s4, s8, s4
	s_addc_u32 s5, s9, s5
	v_cmp_gt_u32_e32 vcc, 64, v0
	s_and_saveexec_b64 s[8:9], vcc
	s_xor_b64 s[8:9], exec, s[8:9]
	s_cbranch_execz .LBB14_8
; %bb.5:
	s_load_dwordx2 s[10:11], s[0:1], 0x0
	s_ashr_i32 s12, s6, 31
	s_mul_hi_u32 s13, s6, s2
	s_mul_i32 s12, s12, s2
	s_add_i32 s13, s13, s12
	s_mul_i32 s12, s6, s2
	s_lshl_b64 s[12:13], s[12:13], 1
	s_waitcnt lgkmcnt(0)
	s_add_u32 s10, s10, s12
	s_addc_u32 s11, s11, s13
	v_lshlrev_b32_e32 v1, 4, v0
	global_load_dwordx4 v[2:5], v1, s[10:11]
	v_mbcnt_lo_u32_b32 v1, -1, 0
	v_mbcnt_hi_u32_b32 v1, -1, v1
	v_and_b32_e32 v6, 0x70, v1
	v_xor_b32_e32 v7, 8, v1
	v_add_u32_e32 v6, 16, v6
	v_cmp_lt_i32_e32 vcc, v7, v6
	s_mov_b32 s6, 0x43600000
	s_waitcnt vmcnt(0)
	v_cvt_f32_u32_sdwa v8, v2 dst_sel:DWORD dst_unused:UNUSED_PAD src0_sel:WORD_0
	v_cvt_f32_u32_sdwa v9, v2 dst_sel:DWORD dst_unused:UNUSED_PAD src0_sel:WORD_1
	v_cvt_f32_u32_sdwa v10, v3 dst_sel:DWORD dst_unused:UNUSED_PAD src0_sel:WORD_0
	v_cvt_f32_u32_sdwa v11, v3 dst_sel:DWORD dst_unused:UNUSED_PAD src0_sel:WORD_1
	;; [unrolled: 2-line block ×4, first 2 shown]
	v_max_f32_e32 v8, v8, v9
	v_max_f32_e32 v9, v10, v11
	;; [unrolled: 1-line block ×3, first 2 shown]
	v_cndmask_b32_e32 v7, v1, v7, vcc
	v_max3_f32 v10, v12, v15, v10
	v_lshlrev_b32_e32 v7, 2, v7
	v_max3_f32 v8, v8, v9, v10
	ds_bpermute_b32 v7, v7, v8
	v_xor_b32_e32 v9, 4, v1
	v_cmp_lt_i32_e32 vcc, v9, v6
	v_and_b32_e32 v10, 15, v0
	s_waitcnt lgkmcnt(0)
	v_max_f32_e32 v7, v7, v7
	v_cndmask_b32_e32 v9, v1, v9, vcc
	v_lshlrev_b32_e32 v9, 2, v9
	v_max_f32_e32 v7, v8, v7
	ds_bpermute_b32 v8, v9, v7
	v_xor_b32_e32 v9, 2, v1
	v_cmp_lt_i32_e32 vcc, v9, v6
	s_waitcnt lgkmcnt(0)
	v_max_f32_e32 v8, v8, v8
	v_cndmask_b32_e32 v9, v1, v9, vcc
	v_lshlrev_b32_e32 v9, 2, v9
	v_max_f32_e32 v7, v7, v8
	ds_bpermute_b32 v8, v9, v7
	v_xor_b32_e32 v9, 1, v1
	v_cmp_lt_i32_e32 vcc, v9, v6
	s_waitcnt lgkmcnt(0)
	v_max_f32_e32 v6, v8, v8
	v_cndmask_b32_e32 v1, v1, v9, vcc
	v_lshlrev_b32_e32 v1, 2, v1
	v_max_f32_e32 v7, v7, v6
	ds_bpermute_b32 v8, v1, v7
	v_lshlrev_b32_e32 v1, 3, v0
	v_mov_b32_e32 v6, 0
	s_waitcnt lgkmcnt(0)
	v_max_f32_e32 v8, v8, v8
	v_max_f32_e32 v7, v7, v8
	v_div_scale_f32 v8, s[10:11], s6, s6, v7
	v_rcp_f32_e32 v9, v8
	v_div_scale_f32 v11, vcc, v7, s6, v7
	v_fma_f32 v12, -v8, v9, 1.0
	v_fmac_f32_e32 v9, v12, v9
	v_mul_f32_e32 v12, v11, v9
	v_fma_f32 v13, -v8, v12, v11
	v_fmac_f32_e32 v12, v13, v9
	v_fma_f32 v8, -v8, v12, v11
	v_div_fmas_f32 v8, v8, v9, v12
	v_div_fixup_f32 v7, v8, s6, v7
	v_max_f32_e32 v7, 0x800000, v7
	v_cmp_eq_u32_e32 vcc, 0, v10
	s_and_saveexec_b64 s[10:11], vcc
	s_cbranch_execz .LBB14_7
; %bb.6:
	s_ashr_i32 s6, s3, 31
	s_lshr_b32 s6, s6, 30
	s_add_i32 s6, s3, s6
	v_lshrrev_b32_e32 v0, 4, v0
	s_ashr_i32 s6, s6, 2
	v_add_u32_e32 v8, s6, v0
	v_ashrrev_i32_e32 v9, 31, v8
	v_lshl_add_u64 v[8:9], v[8:9], 2, s[4:5]
	global_store_dword v[8:9], v7, off
.LBB14_7:
	s_or_b64 exec, exec, s[10:11]
	v_cvt_f32_f16_e32 v0, v2
	v_cvt_f32_f16_sdwa v2, v2 dst_sel:DWORD dst_unused:UNUSED_PAD src0_sel:WORD_1
	s_mov_b32 s6, 0x7f800000
	s_mov_b32 s12, 0x43700000
	v_div_scale_f32 v8, s[10:11], v7, v7, v0
	v_rcp_f32_e32 v9, v8
	v_div_scale_f32 v10, vcc, v0, v7, v0
	v_fma_f32 v11, -v8, v9, 1.0
	v_fmac_f32_e32 v9, v11, v9
	v_mul_f32_e32 v11, v10, v9
	v_fma_f32 v12, -v8, v11, v10
	v_fmac_f32_e32 v11, v12, v9
	v_fma_f32 v8, -v8, v11, v10
	v_div_fmas_f32 v8, v8, v9, v11
	v_div_fixup_f32 v0, v8, v7, v0
	v_div_scale_f32 v8, s[10:11], v7, v7, v2
	v_rcp_f32_e32 v9, v8
	v_cvt_f16_f32_e32 v0, v0
	v_mov_b32_e32 v10, 0xc3700000
	v_fma_f32 v11, -v8, v9, 1.0
	v_fmac_f32_e32 v9, v11, v9
	v_div_scale_f32 v11, vcc, v2, v7, v2
	v_mul_f32_e32 v13, v11, v9
	v_fma_f32 v14, -v8, v13, v11
	v_fmac_f32_e32 v13, v14, v9
	v_fma_f32 v8, -v8, v13, v11
	v_div_fmas_f32 v8, v8, v9, v13
	v_div_fixup_f32 v2, v8, v7, v2
	v_cvt_f32_f16_e32 v8, v3
	v_cvt_f32_f16_e32 v0, v0
	v_cvt_f16_f32_e32 v2, v2
	v_cvt_f32_f16_sdwa v3, v3 dst_sel:DWORD dst_unused:UNUSED_PAD src0_sel:WORD_1
	v_div_scale_f32 v9, s[10:11], v7, v7, v8
	v_rcp_f32_e32 v11, v9
	v_med3_f32 v12, v0, s12, v10
	v_cmp_nlg_f32_e64 vcc, |v0|, s6
	v_cvt_f32_f16_e32 v2, v2
	v_fma_f32 v13, -v9, v11, 1.0
	v_cndmask_b32_e32 v0, v12, v0, vcc
	v_fmac_f32_e32 v11, v13, v11
	v_div_scale_f32 v13, vcc, v8, v7, v8
	v_mul_f32_e32 v14, v13, v11
	v_fma_f32 v15, -v9, v14, v13
	v_fmac_f32_e32 v14, v15, v11
	v_fma_f32 v9, -v9, v14, v13
	v_div_fmas_f32 v9, v9, v11, v14
	v_div_fixup_f32 v8, v9, v7, v8
	v_cvt_f16_f32_e32 v8, v8
	v_mov_b32_e32 v12, 0
	v_cvt_pk_fp8_f32 v12, v0, v0
	v_med3_f32 v0, v2, s12, v10
	v_cmp_nlg_f32_e64 vcc, |v2|, s6
	v_mov_b32_e32 v11, 0
	s_nop 0
	v_cndmask_b32_e32 v0, v0, v2, vcc
	v_cvt_f32_f16_e32 v2, v8
	v_div_scale_f32 v8, s[10:11], v7, v7, v3
	v_rcp_f32_e32 v9, v8
	v_cvt_pk_fp8_f32 v11, v0, v0
	v_med3_f32 v0, v2, s12, v10
	v_fma_f32 v13, -v8, v9, 1.0
	v_fmac_f32_e32 v9, v13, v9
	v_div_scale_f32 v13, vcc, v3, v7, v3
	v_mul_f32_e32 v14, v13, v9
	v_fma_f32 v15, -v8, v14, v13
	v_fmac_f32_e32 v14, v15, v9
	v_fma_f32 v8, -v8, v14, v13
	v_div_fmas_f32 v8, v8, v9, v14
	v_div_fixup_f32 v3, v8, v7, v3
	v_cvt_f16_f32_e32 v3, v3
	v_cvt_f32_f16_e32 v8, v4
	v_cmp_nlg_f32_e64 vcc, |v2|, s6
	v_cvt_f32_f16_sdwa v4, v4 dst_sel:DWORD dst_unused:UNUSED_PAD src0_sel:WORD_1
	v_mov_b32_e32 v13, 0
	v_cndmask_b32_e32 v0, v0, v2, vcc
	v_cvt_f32_f16_e32 v2, v3
	v_div_scale_f32 v3, s[10:11], v7, v7, v8
	v_rcp_f32_e32 v9, v3
	v_cvt_pk_fp8_f32 v13, v0, v0
	v_med3_f32 v0, v2, s12, v10
	v_fma_f32 v14, -v3, v9, 1.0
	v_fmac_f32_e32 v9, v14, v9
	v_div_scale_f32 v14, vcc, v8, v7, v8
	v_mul_f32_e32 v15, v14, v9
	v_fma_f32 v16, -v3, v15, v14
	v_fmac_f32_e32 v15, v16, v9
	v_fma_f32 v3, -v3, v15, v14
	v_div_fmas_f32 v3, v3, v9, v15
	v_div_fixup_f32 v3, v3, v7, v8
	v_cvt_f16_f32_e32 v3, v3
	v_cmp_nlg_f32_e64 vcc, |v2|, s6
	v_mov_b32_e32 v9, 0
	s_nop 0
	v_cndmask_b32_e32 v0, v0, v2, vcc
	v_cvt_f32_f16_e32 v2, v3
	v_div_scale_f32 v3, s[10:11], v7, v7, v4
	v_rcp_f32_e32 v8, v3
	v_cvt_pk_fp8_f32 v9, v0, v0
	v_med3_f32 v0, v2, s12, v10
	v_fma_f32 v14, -v3, v8, 1.0
	v_fmac_f32_e32 v8, v14, v8
	v_div_scale_f32 v14, vcc, v4, v7, v4
	v_mul_f32_e32 v15, v14, v8
	v_fma_f32 v16, -v3, v15, v14
	v_fmac_f32_e32 v15, v16, v8
	v_fma_f32 v3, -v3, v15, v14
	v_div_fmas_f32 v3, v3, v8, v15
	v_div_fixup_f32 v3, v3, v7, v4
	v_cvt_f16_f32_e32 v3, v3
	v_cvt_f32_f16_e32 v4, v5
	v_cmp_nlg_f32_e64 vcc, |v2|, s6
	v_cvt_f32_f16_sdwa v5, v5 dst_sel:DWORD dst_unused:UNUSED_PAD src0_sel:WORD_1
	v_mov_b32_e32 v14, 0
	v_cndmask_b32_e32 v0, v0, v2, vcc
	v_cvt_f32_f16_e32 v2, v3
	v_div_scale_f32 v3, s[10:11], v7, v7, v4
	v_rcp_f32_e32 v8, v3
	v_cvt_pk_fp8_f32 v14, v0, v0
	v_med3_f32 v0, v2, s12, v10
	v_fma_f32 v15, -v3, v8, 1.0
	v_fmac_f32_e32 v8, v15, v8
	v_div_scale_f32 v15, vcc, v4, v7, v4
	v_mul_f32_e32 v16, v15, v8
	v_fma_f32 v17, -v3, v16, v15
	v_fmac_f32_e32 v16, v17, v8
	v_fma_f32 v3, -v3, v16, v15
	v_div_fmas_f32 v3, v3, v8, v16
	v_div_fixup_f32 v3, v3, v7, v4
	v_div_scale_f32 v4, s[10:11], v7, v7, v5
	v_cvt_f16_f32_e32 v3, v3
	v_rcp_f32_e32 v8, v4
	v_cmp_nlg_f32_e64 vcc, |v2|, s6
	s_nop 1
	v_cndmask_b32_e32 v0, v0, v2, vcc
	v_cvt_f32_f16_e32 v2, v3
	v_fma_f32 v3, -v4, v8, 1.0
	v_fmac_f32_e32 v8, v3, v8
	v_div_scale_f32 v3, vcc, v5, v7, v5
	v_mul_f32_e32 v15, v3, v8
	v_fma_f32 v16, -v4, v15, v3
	v_fmac_f32_e32 v15, v16, v8
	v_fma_f32 v3, -v4, v15, v3
	v_div_fmas_f32 v3, v3, v8, v15
	v_div_fixup_f32 v3, v3, v7, v5
	v_cvt_f16_f32_e32 v3, v3
	v_mov_b32_e32 v4, 0
	v_cvt_pk_fp8_f32 v4, v0, v0
	v_med3_f32 v0, v2, s12, v10
	v_cvt_f32_f16_e32 v3, v3
	v_cmp_nlg_f32_e64 vcc, |v2|, s6
	v_med3_f32 v5, v3, s12, v10
	s_nop 0
	v_cndmask_b32_e32 v0, v0, v2, vcc
	v_cmp_nlg_f32_e64 vcc, |v3|, s6
	v_mov_b32_e32 v2, 0
	v_cvt_pk_fp8_f32 v2, v0, v0
	v_cndmask_b32_e32 v3, v5, v3, vcc
	v_cvt_pk_fp8_f32 v6, v3, v3
	v_lshlrev_b16_e32 v0, 8, v4
	v_or_b32_sdwa v0, v14, v0 dst_sel:DWORD dst_unused:UNUSED_PAD src0_sel:BYTE_0 src1_sel:DWORD
	v_lshlrev_b16_e32 v3, 8, v6
	v_or_b32_sdwa v2, v2, v3 dst_sel:WORD_1 dst_unused:UNUSED_PAD src0_sel:BYTE_0 src1_sel:DWORD
	s_nop 0
	v_or_b32_sdwa v3, v0, v2 dst_sel:DWORD dst_unused:UNUSED_PAD src0_sel:WORD_0 src1_sel:DWORD
	v_lshlrev_b16_e32 v0, 8, v11
	v_lshlrev_b16_e32 v2, 8, v9
	v_or_b32_sdwa v0, v12, v0 dst_sel:DWORD dst_unused:UNUSED_PAD src0_sel:BYTE_0 src1_sel:DWORD
	v_or_b32_sdwa v2, v13, v2 dst_sel:WORD_1 dst_unused:UNUSED_PAD src0_sel:BYTE_0 src1_sel:DWORD
	s_nop 0
	v_or_b32_sdwa v2, v0, v2 dst_sel:DWORD dst_unused:UNUSED_PAD src0_sel:WORD_0 src1_sel:DWORD
	v_lshlrev_b32_e32 v0, 1, v1
	global_store_dwordx2 v0, v[2:3], s[4:5]
                                        ; implicit-def: $vgpr0
.LBB14_8:
	s_andn2_saveexec_b64 s[8:9], s[8:9]
	s_cbranch_execz .LBB14_10
; %bb.9:
	s_load_dwordx2 s[0:1], s[0:1], 0x8
	s_ashr_i32 s6, s7, 31
	s_mul_hi_u32 s8, s7, s2
	s_mul_i32 s6, s6, s2
	v_lshlrev_b16_e32 v0, 1, v0
	s_add_i32 s9, s8, s6
	s_mul_i32 s8, s7, s2
	v_xor_b32_e32 v0, 0x80, v0
	s_lshl_b64 s[6:7], s[8:9], 1
	v_bfe_i32 v0, v0, 0, 8
	s_waitcnt lgkmcnt(0)
	s_add_u32 s0, s0, s6
	v_ashrrev_i32_e32 v1, 31, v0
	s_addc_u32 s1, s1, s7
	v_lshl_add_u64 v[2:3], v[0:1], 1, s[0:1]
	global_load_dword v2, v[2:3], off
	s_lshr_b32 s0, s3, 31
	s_add_i32 s3, s3, s0
	s_ashr_i32 s0, s3, 1
	s_ashr_i32 s1, s0, 31
	v_lshl_add_u64 v[0:1], v[0:1], 0, s[0:1]
	v_lshl_add_u64 v[0:1], v[0:1], 1, s[4:5]
	s_waitcnt vmcnt(0)
	global_store_dword v[0:1], v2, off offset:16
.LBB14_10:
	s_endpgm
.LBB14_11:
                                        ; implicit-def: $sgpr14_sgpr15
	s_branch .LBB14_3
	.section	.rodata,"a",@progbits
	.p2align	6, 0x0
	.amdhsa_kernel _ZN4vllm30concat_and_cache_ds_mla_kernelIttLNS_18Fp8KVCacheDataTypeE0EEEvPKT_S4_PT0_PKliiiiiiiPKf
		.amdhsa_group_segment_fixed_size 0
		.amdhsa_private_segment_fixed_size 0
		.amdhsa_kernarg_size 72
		.amdhsa_user_sgpr_count 2
		.amdhsa_user_sgpr_dispatch_ptr 0
		.amdhsa_user_sgpr_queue_ptr 0
		.amdhsa_user_sgpr_kernarg_segment_ptr 1
		.amdhsa_user_sgpr_dispatch_id 0
		.amdhsa_user_sgpr_kernarg_preload_length 0
		.amdhsa_user_sgpr_kernarg_preload_offset 0
		.amdhsa_user_sgpr_private_segment_size 0
		.amdhsa_uses_dynamic_stack 0
		.amdhsa_enable_private_segment 0
		.amdhsa_system_sgpr_workgroup_id_x 1
		.amdhsa_system_sgpr_workgroup_id_y 0
		.amdhsa_system_sgpr_workgroup_id_z 0
		.amdhsa_system_sgpr_workgroup_info 0
		.amdhsa_system_vgpr_workitem_id 0
		.amdhsa_next_free_vgpr 18
		.amdhsa_next_free_sgpr 26
		.amdhsa_accum_offset 20
		.amdhsa_reserve_vcc 1
		.amdhsa_float_round_mode_32 0
		.amdhsa_float_round_mode_16_64 0
		.amdhsa_float_denorm_mode_32 3
		.amdhsa_float_denorm_mode_16_64 3
		.amdhsa_dx10_clamp 1
		.amdhsa_ieee_mode 1
		.amdhsa_fp16_overflow 0
		.amdhsa_tg_split 0
		.amdhsa_exception_fp_ieee_invalid_op 0
		.amdhsa_exception_fp_denorm_src 0
		.amdhsa_exception_fp_ieee_div_zero 0
		.amdhsa_exception_fp_ieee_overflow 0
		.amdhsa_exception_fp_ieee_underflow 0
		.amdhsa_exception_fp_ieee_inexact 0
		.amdhsa_exception_int_div_zero 0
	.end_amdhsa_kernel
	.section	.text._ZN4vllm30concat_and_cache_ds_mla_kernelIttLNS_18Fp8KVCacheDataTypeE0EEEvPKT_S4_PT0_PKliiiiiiiPKf,"axG",@progbits,_ZN4vllm30concat_and_cache_ds_mla_kernelIttLNS_18Fp8KVCacheDataTypeE0EEEvPKT_S4_PT0_PKliiiiiiiPKf,comdat
.Lfunc_end14:
	.size	_ZN4vllm30concat_and_cache_ds_mla_kernelIttLNS_18Fp8KVCacheDataTypeE0EEEvPKT_S4_PT0_PKliiiiiiiPKf, .Lfunc_end14-_ZN4vllm30concat_and_cache_ds_mla_kernelIttLNS_18Fp8KVCacheDataTypeE0EEEvPKT_S4_PT0_PKliiiiiiiPKf
                                        ; -- End function
	.section	.AMDGPU.csdata,"",@progbits
; Kernel info:
; codeLenInByte = 2580
; NumSgprs: 32
; NumVgprs: 18
; NumAgprs: 0
; TotalNumVgprs: 18
; ScratchSize: 0
; MemoryBound: 0
; FloatMode: 240
; IeeeMode: 1
; LDSByteSize: 0 bytes/workgroup (compile time only)
; SGPRBlocks: 3
; VGPRBlocks: 2
; NumSGPRsForWavesPerEU: 32
; NumVGPRsForWavesPerEU: 18
; AccumOffset: 20
; Occupancy: 8
; WaveLimiterHint : 0
; COMPUTE_PGM_RSRC2:SCRATCH_EN: 0
; COMPUTE_PGM_RSRC2:USER_SGPR: 2
; COMPUTE_PGM_RSRC2:TRAP_HANDLER: 0
; COMPUTE_PGM_RSRC2:TGID_X_EN: 1
; COMPUTE_PGM_RSRC2:TGID_Y_EN: 0
; COMPUTE_PGM_RSRC2:TGID_Z_EN: 0
; COMPUTE_PGM_RSRC2:TIDIG_COMP_CNT: 0
; COMPUTE_PGM_RSRC3_GFX90A:ACCUM_OFFSET: 4
; COMPUTE_PGM_RSRC3_GFX90A:TG_SPLIT: 0
	.section	.text._ZN4vllm30concat_and_cache_ds_mla_kernelI14__hip_bfloat16S1_LNS_18Fp8KVCacheDataTypeE0EEEvPKT_S5_PT0_PKliiiiiiiPKf,"axG",@progbits,_ZN4vllm30concat_and_cache_ds_mla_kernelI14__hip_bfloat16S1_LNS_18Fp8KVCacheDataTypeE0EEEvPKT_S5_PT0_PKliiiiiiiPKf,comdat
	.protected	_ZN4vllm30concat_and_cache_ds_mla_kernelI14__hip_bfloat16S1_LNS_18Fp8KVCacheDataTypeE0EEEvPKT_S5_PT0_PKliiiiiiiPKf ; -- Begin function _ZN4vllm30concat_and_cache_ds_mla_kernelI14__hip_bfloat16S1_LNS_18Fp8KVCacheDataTypeE0EEEvPKT_S5_PT0_PKliiiiiiiPKf
	.globl	_ZN4vllm30concat_and_cache_ds_mla_kernelI14__hip_bfloat16S1_LNS_18Fp8KVCacheDataTypeE0EEEvPKT_S5_PT0_PKliiiiiiiPKf
	.p2align	8
	.type	_ZN4vllm30concat_and_cache_ds_mla_kernelI14__hip_bfloat16S1_LNS_18Fp8KVCacheDataTypeE0EEEvPKT_S5_PT0_PKliiiiiiiPKf,@function
_ZN4vllm30concat_and_cache_ds_mla_kernelI14__hip_bfloat16S1_LNS_18Fp8KVCacheDataTypeE0EEEvPKT_S5_PT0_PKliiiiiiiPKf: ; @_ZN4vllm30concat_and_cache_ds_mla_kernelI14__hip_bfloat16S1_LNS_18Fp8KVCacheDataTypeE0EEEvPKT_S5_PT0_PKliiiiiiiPKf
; %bb.0:
	s_load_dwordx2 s[4:5], s[0:1], 0x18
	s_mov_b32 s3, 0
	s_lshl_b64 s[6:7], s[2:3], 3
	s_waitcnt lgkmcnt(0)
	s_add_u32 s4, s4, s6
	s_addc_u32 s5, s5, s7
	s_load_dwordx2 s[10:11], s[4:5], 0x0
	s_waitcnt lgkmcnt(0)
	v_cmp_lt_i64_e64 s[4:5], s[10:11], 0
	s_and_b64 vcc, exec, s[4:5]
	s_cbranch_vccnz .LBB15_10
; %bb.1:
	s_load_dword s12, s[0:1], 0x38
	s_load_dwordx2 s[8:9], s[0:1], 0x10
	s_waitcnt lgkmcnt(0)
	s_ashr_i32 s13, s12, 31
	s_or_b64 s[4:5], s[10:11], s[12:13]
	s_mov_b32 s4, s3
	s_cmp_lg_u64 s[4:5], 0
	s_cbranch_scc0 .LBB15_11
; %bb.2:
	s_add_u32 s4, s12, s13
	s_mov_b32 s14, s13
	s_mov_b32 s15, s13
	s_addc_u32 s5, s13, s13
	s_xor_b64 s[16:17], s[4:5], s[14:15]
	v_cvt_f32_u32_e32 v1, s16
	v_cvt_f32_u32_e32 v2, s17
	s_sub_u32 s3, 0, s16
	s_subb_u32 s4, 0, s17
	v_fmamk_f32 v1, v2, 0x4f800000, v1
	v_rcp_f32_e32 v1, v1
	s_nop 0
	v_mul_f32_e32 v1, 0x5f7ffffc, v1
	v_mul_f32_e32 v2, 0x2f800000, v1
	v_trunc_f32_e32 v2, v2
	v_fmamk_f32 v1, v2, 0xcf800000, v1
	v_cvt_u32_f32_e32 v2, v2
	v_cvt_u32_f32_e32 v1, v1
	v_readfirstlane_b32 s5, v2
	v_readfirstlane_b32 s18, v1
	s_mul_i32 s19, s3, s5
	s_mul_hi_u32 s21, s3, s18
	s_mul_i32 s20, s4, s18
	s_add_i32 s19, s21, s19
	s_add_i32 s19, s19, s20
	s_mul_i32 s22, s3, s18
	s_mul_hi_u32 s20, s18, s19
	s_mul_i32 s21, s18, s19
	s_mul_hi_u32 s18, s18, s22
	s_add_u32 s18, s18, s21
	s_addc_u32 s20, 0, s20
	s_mul_hi_u32 s23, s5, s22
	s_mul_i32 s22, s5, s22
	s_add_u32 s18, s18, s22
	s_mul_hi_u32 s21, s5, s19
	s_addc_u32 s18, s20, s23
	s_addc_u32 s20, s21, 0
	s_mul_i32 s19, s5, s19
	s_add_u32 s18, s18, s19
	s_addc_u32 s19, 0, s20
	v_add_co_u32_e32 v1, vcc, s18, v1
	s_cmp_lg_u64 vcc, 0
	s_addc_u32 s5, s5, s19
	v_readfirstlane_b32 s19, v1
	s_mul_i32 s18, s3, s5
	s_mul_hi_u32 s20, s3, s19
	s_add_i32 s18, s20, s18
	s_mul_i32 s4, s4, s19
	s_add_i32 s18, s18, s4
	s_mul_i32 s3, s3, s19
	s_mul_hi_u32 s20, s5, s3
	s_mul_i32 s21, s5, s3
	s_mul_i32 s23, s19, s18
	s_mul_hi_u32 s3, s19, s3
	s_mul_hi_u32 s22, s19, s18
	s_add_u32 s3, s3, s23
	s_addc_u32 s19, 0, s22
	s_add_u32 s3, s3, s21
	s_mul_hi_u32 s4, s5, s18
	s_addc_u32 s3, s19, s20
	s_addc_u32 s4, s4, 0
	s_mul_i32 s18, s5, s18
	s_add_u32 s3, s3, s18
	s_addc_u32 s4, 0, s4
	v_add_co_u32_e32 v1, vcc, s3, v1
	s_cmp_lg_u64 vcc, 0
	s_addc_u32 s3, s5, s4
	s_ashr_i32 s18, s11, 31
	s_add_u32 s4, s10, s18
	s_mov_b32 s19, s18
	s_addc_u32 s5, s11, s18
	s_xor_b64 s[20:21], s[4:5], s[18:19]
	v_readfirstlane_b32 s22, v1
	s_mul_i32 s5, s20, s3
	s_mul_hi_u32 s23, s20, s22
	s_mul_hi_u32 s4, s20, s3
	s_add_u32 s5, s23, s5
	s_addc_u32 s4, 0, s4
	s_mul_hi_u32 s24, s21, s22
	s_mul_i32 s22, s21, s22
	s_add_u32 s5, s5, s22
	s_mul_hi_u32 s23, s21, s3
	s_addc_u32 s4, s4, s24
	s_addc_u32 s5, s23, 0
	s_mul_i32 s3, s21, s3
	s_add_u32 s3, s4, s3
	s_addc_u32 s22, 0, s5
	s_mul_i32 s4, s16, s22
	s_mul_hi_u32 s5, s16, s3
	s_add_i32 s4, s5, s4
	s_mul_i32 s5, s17, s3
	s_add_i32 s23, s4, s5
	s_mul_i32 s5, s16, s3
	v_mov_b32_e32 v1, s5
	s_sub_i32 s4, s21, s23
	v_sub_co_u32_e32 v1, vcc, s20, v1
	s_cmp_lg_u64 vcc, 0
	s_subb_u32 s20, s4, s17
	v_subrev_co_u32_e64 v2, s[4:5], s16, v1
	s_cmp_lg_u64 s[4:5], 0
	s_subb_u32 s4, s20, 0
	s_cmp_ge_u32 s4, s17
	v_readfirstlane_b32 s20, v2
	s_cselect_b32 s5, -1, 0
	s_cmp_ge_u32 s20, s16
	s_cselect_b32 s20, -1, 0
	s_cmp_eq_u32 s4, s17
	s_cselect_b32 s4, s20, s5
	s_add_u32 s5, s3, 1
	s_addc_u32 s20, s22, 0
	s_add_u32 s24, s3, 2
	s_addc_u32 s25, s22, 0
	s_cmp_lg_u32 s4, 0
	s_cselect_b32 s4, s24, s5
	s_cselect_b32 s5, s25, s20
	s_cmp_lg_u64 vcc, 0
	s_subb_u32 s20, s21, s23
	s_cmp_ge_u32 s20, s17
	v_readfirstlane_b32 s23, v1
	s_cselect_b32 s21, -1, 0
	s_cmp_ge_u32 s23, s16
	s_cselect_b32 s16, -1, 0
	s_cmp_eq_u32 s20, s17
	s_cselect_b32 s16, s16, s21
	s_cmp_lg_u32 s16, 0
	s_cselect_b32 s5, s5, s22
	s_cselect_b32 s4, s4, s3
	s_xor_b64 s[14:15], s[18:19], s[14:15]
	s_xor_b64 s[4:5], s[4:5], s[14:15]
	s_sub_u32 s14, s4, s14
	s_subb_u32 s15, s5, s15
	s_cbranch_execnz .LBB15_4
.LBB15_3:
	v_cvt_f32_u32_e32 v1, s12
	s_sub_i32 s3, 0, s12
	s_mov_b32 s15, 0
	v_rcp_iflag_f32_e32 v1, v1
	s_nop 0
	v_mul_f32_e32 v1, 0x4f7ffffe, v1
	v_cvt_u32_f32_e32 v1, v1
	s_nop 0
	v_readfirstlane_b32 s4, v1
	s_mul_i32 s3, s3, s4
	s_mul_hi_u32 s3, s4, s3
	s_add_i32 s4, s4, s3
	s_mul_hi_u32 s3, s10, s4
	s_mul_i32 s5, s3, s12
	s_sub_i32 s5, s10, s5
	s_add_i32 s4, s3, 1
	s_sub_i32 s6, s5, s12
	s_cmp_ge_u32 s5, s12
	s_cselect_b32 s3, s4, s3
	s_cselect_b32 s5, s6, s5
	s_add_i32 s4, s3, 1
	s_cmp_ge_u32 s5, s12
	s_cselect_b32 s14, s4, s3
.LBB15_4:
	s_load_dwordx4 s[4:7], s[0:1], 0x20
	s_load_dword s3, s[0:1], 0x30
	s_mul_i32 s13, s14, s13
	s_mul_hi_u32 s16, s14, s12
	s_add_i32 s13, s16, s13
	s_mul_i32 s16, s15, s12
	s_add_i32 s13, s13, s16
	s_mul_i32 s12, s14, s12
	s_sub_u32 s12, s10, s12
	s_subb_u32 s13, s11, s13
	s_waitcnt lgkmcnt(0)
	s_ashr_i32 s10, s4, 31
	s_mul_hi_u32 s11, s14, s4
	s_mul_i32 s10, s14, s10
	s_add_i32 s10, s11, s10
	s_mul_i32 s11, s15, s4
	s_add_i32 s11, s10, s11
	s_mul_i32 s10, s14, s4
	s_ashr_i32 s4, s5, 31
	s_mul_i32 s4, s12, s4
	s_mul_hi_u32 s14, s12, s5
	s_add_i32 s4, s14, s4
	s_mul_i32 s13, s13, s5
	s_add_i32 s13, s4, s13
	s_mul_i32 s12, s12, s5
	s_lshl_b64 s[4:5], s[10:11], 1
	s_add_u32 s8, s8, s4
	s_addc_u32 s9, s9, s5
	s_lshl_b64 s[4:5], s[12:13], 1
	s_add_u32 s4, s8, s4
	s_addc_u32 s5, s9, s5
	v_cmp_gt_u32_e32 vcc, 64, v0
	s_and_saveexec_b64 s[8:9], vcc
	s_xor_b64 s[8:9], exec, s[8:9]
	s_cbranch_execz .LBB15_8
; %bb.5:
	s_load_dwordx2 s[10:11], s[0:1], 0x0
	s_ashr_i32 s12, s6, 31
	s_mul_hi_u32 s13, s6, s2
	s_mul_i32 s12, s12, s2
	s_add_i32 s13, s13, s12
	s_mul_i32 s12, s6, s2
	s_lshl_b64 s[12:13], s[12:13], 1
	s_waitcnt lgkmcnt(0)
	s_add_u32 s10, s10, s12
	s_addc_u32 s11, s11, s13
	v_lshlrev_b32_e32 v1, 4, v0
	global_load_dwordx4 v[12:15], v1, s[10:11]
	v_mbcnt_lo_u32_b32 v1, -1, 0
	v_mbcnt_hi_u32_b32 v2, -1, v1
	v_and_b32_e32 v1, 0x70, v2
	v_xor_b32_e32 v3, 8, v2
	v_add_u32_e32 v4, 16, v1
	v_cmp_lt_i32_e32 vcc, v3, v4
	s_mov_b32 s6, 0x43600000
	s_waitcnt vmcnt(0)
	v_lshlrev_b32_e32 v11, 16, v12
	v_cndmask_b32_e32 v1, v2, v3, vcc
	v_lshlrev_b32_e32 v7, 2, v1
	v_and_b32_e32 v10, 0xffff0000, v12
	v_lshlrev_b32_e32 v9, 16, v13
	v_and_b32_e32 v8, 0xffff0000, v13
	;; [unrolled: 2-line block ×4, first 2 shown]
	v_max_f32_e64 v12, |v10|, |v10|
	v_max_f32_e64 v13, |v11|, |v11|
	;; [unrolled: 1-line block ×6, first 2 shown]
	v_max_f32_e32 v12, v13, v12
	v_max_f32_e32 v13, v15, v14
	;; [unrolled: 1-line block ×3, first 2 shown]
	v_max3_f32 v14, |v6|, |v5|, v14
	v_max3_f32 v12, v12, v13, v14
	ds_bpermute_b32 v7, v7, v12
	v_xor_b32_e32 v13, 4, v2
	v_cmp_lt_i32_e32 vcc, v13, v4
	v_and_b32_e32 v14, 15, v0
	s_waitcnt lgkmcnt(0)
	v_max_f32_e32 v7, v7, v7
	v_cndmask_b32_e32 v13, v2, v13, vcc
	v_lshlrev_b32_e32 v13, 2, v13
	v_max_f32_e32 v7, v12, v7
	ds_bpermute_b32 v12, v13, v7
	v_xor_b32_e32 v13, 2, v2
	v_cmp_lt_i32_e32 vcc, v13, v4
	s_waitcnt lgkmcnt(0)
	v_max_f32_e32 v12, v12, v12
	v_cndmask_b32_e32 v13, v2, v13, vcc
	v_lshlrev_b32_e32 v13, 2, v13
	v_max_f32_e32 v7, v7, v12
	ds_bpermute_b32 v12, v13, v7
	v_xor_b32_e32 v13, 1, v2
	v_cmp_lt_i32_e32 vcc, v13, v4
	s_waitcnt lgkmcnt(0)
	v_max_f32_e32 v4, v12, v12
	v_cndmask_b32_e32 v2, v2, v13, vcc
	v_lshlrev_b32_e32 v2, 2, v2
	v_max_f32_e32 v7, v7, v4
	ds_bpermute_b32 v12, v2, v7
	v_lshlrev_b32_e32 v2, 3, v0
	v_mov_b32_e32 v4, 0
	s_waitcnt lgkmcnt(0)
	v_max_f32_e32 v12, v12, v12
	v_max_f32_e32 v7, v7, v12
	v_div_scale_f32 v12, s[10:11], s6, s6, v7
	v_rcp_f32_e32 v13, v12
	v_div_scale_f32 v15, vcc, v7, s6, v7
	v_fma_f32 v16, -v12, v13, 1.0
	v_fmac_f32_e32 v13, v16, v13
	v_mul_f32_e32 v16, v15, v13
	v_fma_f32 v17, -v12, v16, v15
	v_fmac_f32_e32 v16, v17, v13
	v_fma_f32 v12, -v12, v16, v15
	v_div_fmas_f32 v12, v12, v13, v16
	v_div_fixup_f32 v7, v12, s6, v7
	v_max_f32_e32 v7, 0x800000, v7
	v_cmp_eq_u32_e32 vcc, 0, v14
	s_and_saveexec_b64 s[10:11], vcc
	s_cbranch_execz .LBB15_7
; %bb.6:
	s_ashr_i32 s6, s3, 31
	s_lshr_b32 s6, s6, 30
	s_add_i32 s6, s3, s6
	v_lshrrev_b32_e32 v0, 4, v0
	s_ashr_i32 s6, s6, 2
	v_add_u32_e32 v12, s6, v0
	v_ashrrev_i32_e32 v13, 31, v12
	v_lshl_add_u64 v[12:13], v[12:13], 2, s[4:5]
	global_store_dword v[12:13], v7, off
.LBB15_7:
	s_or_b64 exec, exec, s[10:11]
	v_div_scale_f32 v0, s[10:11], v7, v7, v11
	v_rcp_f32_e32 v12, v0
	v_div_scale_f32 v13, vcc, v11, v7, v11
	s_mov_b32 s6, 0x7f800000
	v_fma_f32 v14, -v0, v12, 1.0
	v_fmac_f32_e32 v12, v14, v12
	v_mul_f32_e32 v14, v13, v12
	v_fma_f32 v15, -v0, v14, v13
	v_fmac_f32_e32 v14, v15, v12
	v_fma_f32 v0, -v0, v14, v13
	v_div_scale_f32 v13, s[10:11], v7, v7, v10
	v_div_fmas_f32 v0, v0, v12, v14
	v_rcp_f32_e32 v14, v13
	v_div_fixup_f32 v0, v0, v7, v11
	s_mov_b32 s12, 0x43700000
	v_mov_b32_e32 v11, 0xc3700000
	v_med3_f32 v12, v0, s12, v11
	v_cmp_nlg_f32_e64 vcc, |v0|, s6
	v_lshlrev_b32_e32 v2, 1, v2
	s_nop 0
	v_cndmask_b32_e32 v0, v12, v0, vcc
	v_mov_b32_e32 v12, 0
	v_cvt_pk_fp8_f32 v12, v0, v0
	v_fma_f32 v0, -v13, v14, 1.0
	v_fmac_f32_e32 v14, v0, v14
	v_div_scale_f32 v0, vcc, v10, v7, v10
	v_mul_f32_e32 v15, v0, v14
	v_fma_f32 v16, -v13, v15, v0
	v_fmac_f32_e32 v15, v16, v14
	v_fma_f32 v0, -v13, v15, v0
	v_div_scale_f32 v13, s[10:11], v7, v7, v9
	v_div_fmas_f32 v0, v0, v14, v15
	v_rcp_f32_e32 v14, v13
	v_div_fixup_f32 v0, v0, v7, v10
	v_med3_f32 v10, v0, s12, v11
	v_cmp_nlg_f32_e64 vcc, |v0|, s6
	s_nop 1
	v_cndmask_b32_e32 v0, v10, v0, vcc
	v_mov_b32_e32 v10, 0
	v_cvt_pk_fp8_f32 v10, v0, v0
	v_fma_f32 v0, -v13, v14, 1.0
	v_fmac_f32_e32 v14, v0, v14
	v_div_scale_f32 v0, vcc, v9, v7, v9
	v_mul_f32_e32 v15, v0, v14
	v_fma_f32 v16, -v13, v15, v0
	v_fmac_f32_e32 v15, v16, v14
	v_fma_f32 v0, -v13, v15, v0
	v_div_scale_f32 v13, s[10:11], v7, v7, v8
	v_div_fmas_f32 v0, v0, v14, v15
	v_rcp_f32_e32 v14, v13
	v_div_fixup_f32 v0, v0, v7, v9
	v_med3_f32 v9, v0, s12, v11
	v_cmp_nlg_f32_e64 vcc, |v0|, s6
	s_nop 1
	v_cndmask_b32_e32 v0, v9, v0, vcc
	v_mov_b32_e32 v9, 0
	v_cvt_pk_fp8_f32 v9, v0, v0
	v_fma_f32 v0, -v13, v14, 1.0
	v_fmac_f32_e32 v14, v0, v14
	v_div_scale_f32 v0, vcc, v8, v7, v8
	v_mul_f32_e32 v15, v0, v14
	v_fma_f32 v16, -v13, v15, v0
	v_fmac_f32_e32 v15, v16, v14
	v_fma_f32 v0, -v13, v15, v0
	v_div_scale_f32 v13, s[10:11], v7, v7, v6
	v_div_fmas_f32 v0, v0, v14, v15
	v_rcp_f32_e32 v14, v13
	v_div_fixup_f32 v0, v0, v7, v8
	v_med3_f32 v8, v0, s12, v11
	v_cmp_nlg_f32_e64 vcc, |v0|, s6
	s_nop 1
	v_cndmask_b32_e32 v0, v8, v0, vcc
	v_mov_b32_e32 v8, 0
	v_cvt_pk_fp8_f32 v8, v0, v0
	v_fma_f32 v0, -v13, v14, 1.0
	v_fmac_f32_e32 v14, v0, v14
	v_div_scale_f32 v0, vcc, v6, v7, v6
	v_mul_f32_e32 v15, v0, v14
	v_fma_f32 v16, -v13, v15, v0
	v_fmac_f32_e32 v15, v16, v14
	v_fma_f32 v0, -v13, v15, v0
	v_div_scale_f32 v13, s[10:11], v7, v7, v5
	v_div_fmas_f32 v0, v0, v14, v15
	v_rcp_f32_e32 v14, v13
	v_div_fixup_f32 v0, v0, v7, v6
	v_med3_f32 v6, v0, s12, v11
	v_cmp_nlg_f32_e64 vcc, |v0|, s6
	s_nop 1
	v_cndmask_b32_e32 v0, v6, v0, vcc
	v_mov_b32_e32 v6, 0
	v_cvt_pk_fp8_f32 v6, v0, v0
	v_fma_f32 v0, -v13, v14, 1.0
	v_fmac_f32_e32 v14, v0, v14
	v_div_scale_f32 v0, vcc, v5, v7, v5
	v_mul_f32_e32 v15, v0, v14
	v_fma_f32 v16, -v13, v15, v0
	v_fmac_f32_e32 v15, v16, v14
	v_fma_f32 v0, -v13, v15, v0
	v_div_scale_f32 v13, s[10:11], v7, v7, v3
	v_div_fmas_f32 v0, v0, v14, v15
	v_rcp_f32_e32 v14, v13
	v_div_fixup_f32 v0, v0, v7, v5
	v_med3_f32 v5, v0, s12, v11
	v_cmp_nlg_f32_e64 vcc, |v0|, s6
	s_nop 1
	v_cndmask_b32_e32 v0, v5, v0, vcc
	v_mov_b32_e32 v5, 0
	v_cvt_pk_fp8_f32 v5, v0, v0
	v_fma_f32 v0, -v13, v14, 1.0
	v_fmac_f32_e32 v14, v0, v14
	v_div_scale_f32 v0, vcc, v3, v7, v3
	v_mul_f32_e32 v15, v0, v14
	v_fma_f32 v16, -v13, v15, v0
	v_fmac_f32_e32 v15, v16, v14
	v_fma_f32 v0, -v13, v15, v0
	v_div_scale_f32 v13, s[10:11], v7, v7, v1
	v_div_fmas_f32 v0, v0, v14, v15
	v_rcp_f32_e32 v14, v13
	v_div_fixup_f32 v0, v0, v7, v3
	v_med3_f32 v3, v0, s12, v11
	v_cmp_nlg_f32_e64 vcc, |v0|, s6
	v_fma_f32 v15, -v13, v14, 1.0
	v_fmac_f32_e32 v14, v15, v14
	v_cndmask_b32_e32 v0, v3, v0, vcc
	v_div_scale_f32 v15, vcc, v1, v7, v1
	v_mul_f32_e32 v16, v15, v14
	v_fma_f32 v17, -v13, v16, v15
	v_fmac_f32_e32 v16, v17, v14
	v_fma_f32 v13, -v13, v16, v15
	v_div_fmas_f32 v13, v13, v14, v16
	v_div_fixup_f32 v1, v13, v7, v1
	v_med3_f32 v7, v1, s12, v11
	v_cmp_nlg_f32_e64 vcc, |v1|, s6
	v_mov_b32_e32 v3, 0
	v_cvt_pk_fp8_f32 v3, v0, v0
	v_cndmask_b32_e32 v1, v7, v1, vcc
	v_cvt_pk_fp8_f32 v4, v1, v1
	v_lshlrev_b16_e32 v0, 8, v5
	v_or_b32_sdwa v0, v6, v0 dst_sel:DWORD dst_unused:UNUSED_PAD src0_sel:BYTE_0 src1_sel:DWORD
	v_lshlrev_b16_e32 v1, 8, v4
	v_or_b32_sdwa v1, v3, v1 dst_sel:WORD_1 dst_unused:UNUSED_PAD src0_sel:BYTE_0 src1_sel:DWORD
	v_lshlrev_b16_e32 v3, 8, v8
	v_or_b32_sdwa v1, v0, v1 dst_sel:DWORD dst_unused:UNUSED_PAD src0_sel:WORD_0 src1_sel:DWORD
	v_lshlrev_b16_e32 v0, 8, v10
	v_or_b32_sdwa v0, v12, v0 dst_sel:DWORD dst_unused:UNUSED_PAD src0_sel:BYTE_0 src1_sel:DWORD
	v_or_b32_sdwa v3, v9, v3 dst_sel:WORD_1 dst_unused:UNUSED_PAD src0_sel:BYTE_0 src1_sel:DWORD
	s_nop 0
	v_or_b32_sdwa v0, v0, v3 dst_sel:DWORD dst_unused:UNUSED_PAD src0_sel:WORD_0 src1_sel:DWORD
	global_store_dwordx2 v2, v[0:1], s[4:5]
                                        ; implicit-def: $vgpr0
.LBB15_8:
	s_andn2_saveexec_b64 s[8:9], s[8:9]
	s_cbranch_execz .LBB15_10
; %bb.9:
	s_load_dwordx2 s[0:1], s[0:1], 0x8
	s_ashr_i32 s6, s7, 31
	s_mul_hi_u32 s8, s7, s2
	s_mul_i32 s6, s6, s2
	v_lshlrev_b16_e32 v0, 1, v0
	s_add_i32 s9, s8, s6
	s_mul_i32 s8, s7, s2
	v_xor_b32_e32 v0, 0x80, v0
	s_lshl_b64 s[6:7], s[8:9], 1
	v_bfe_i32 v0, v0, 0, 8
	s_waitcnt lgkmcnt(0)
	s_add_u32 s0, s0, s6
	v_ashrrev_i32_e32 v1, 31, v0
	s_addc_u32 s1, s1, s7
	v_lshl_add_u64 v[2:3], v[0:1], 1, s[0:1]
	global_load_dword v2, v[2:3], off
	s_lshr_b32 s0, s3, 31
	s_add_i32 s3, s3, s0
	s_ashr_i32 s0, s3, 1
	s_ashr_i32 s1, s0, 31
	v_lshl_add_u64 v[0:1], v[0:1], 0, s[0:1]
	v_lshl_add_u64 v[0:1], v[0:1], 1, s[4:5]
	s_waitcnt vmcnt(0)
	global_store_dword v[0:1], v2, off offset:16
.LBB15_10:
	s_endpgm
.LBB15_11:
                                        ; implicit-def: $sgpr14_sgpr15
	s_branch .LBB15_3
	.section	.rodata,"a",@progbits
	.p2align	6, 0x0
	.amdhsa_kernel _ZN4vllm30concat_and_cache_ds_mla_kernelI14__hip_bfloat16S1_LNS_18Fp8KVCacheDataTypeE0EEEvPKT_S5_PT0_PKliiiiiiiPKf
		.amdhsa_group_segment_fixed_size 0
		.amdhsa_private_segment_fixed_size 0
		.amdhsa_kernarg_size 72
		.amdhsa_user_sgpr_count 2
		.amdhsa_user_sgpr_dispatch_ptr 0
		.amdhsa_user_sgpr_queue_ptr 0
		.amdhsa_user_sgpr_kernarg_segment_ptr 1
		.amdhsa_user_sgpr_dispatch_id 0
		.amdhsa_user_sgpr_kernarg_preload_length 0
		.amdhsa_user_sgpr_kernarg_preload_offset 0
		.amdhsa_user_sgpr_private_segment_size 0
		.amdhsa_uses_dynamic_stack 0
		.amdhsa_enable_private_segment 0
		.amdhsa_system_sgpr_workgroup_id_x 1
		.amdhsa_system_sgpr_workgroup_id_y 0
		.amdhsa_system_sgpr_workgroup_id_z 0
		.amdhsa_system_sgpr_workgroup_info 0
		.amdhsa_system_vgpr_workitem_id 0
		.amdhsa_next_free_vgpr 18
		.amdhsa_next_free_sgpr 26
		.amdhsa_accum_offset 20
		.amdhsa_reserve_vcc 1
		.amdhsa_float_round_mode_32 0
		.amdhsa_float_round_mode_16_64 0
		.amdhsa_float_denorm_mode_32 3
		.amdhsa_float_denorm_mode_16_64 3
		.amdhsa_dx10_clamp 1
		.amdhsa_ieee_mode 1
		.amdhsa_fp16_overflow 0
		.amdhsa_tg_split 0
		.amdhsa_exception_fp_ieee_invalid_op 0
		.amdhsa_exception_fp_denorm_src 0
		.amdhsa_exception_fp_ieee_div_zero 0
		.amdhsa_exception_fp_ieee_overflow 0
		.amdhsa_exception_fp_ieee_underflow 0
		.amdhsa_exception_fp_ieee_inexact 0
		.amdhsa_exception_int_div_zero 0
	.end_amdhsa_kernel
	.section	.text._ZN4vllm30concat_and_cache_ds_mla_kernelI14__hip_bfloat16S1_LNS_18Fp8KVCacheDataTypeE0EEEvPKT_S5_PT0_PKliiiiiiiPKf,"axG",@progbits,_ZN4vllm30concat_and_cache_ds_mla_kernelI14__hip_bfloat16S1_LNS_18Fp8KVCacheDataTypeE0EEEvPKT_S5_PT0_PKliiiiiiiPKf,comdat
.Lfunc_end15:
	.size	_ZN4vllm30concat_and_cache_ds_mla_kernelI14__hip_bfloat16S1_LNS_18Fp8KVCacheDataTypeE0EEEvPKT_S5_PT0_PKliiiiiiiPKf, .Lfunc_end15-_ZN4vllm30concat_and_cache_ds_mla_kernelI14__hip_bfloat16S1_LNS_18Fp8KVCacheDataTypeE0EEEvPKT_S5_PT0_PKliiiiiiiPKf
                                        ; -- End function
	.section	.AMDGPU.csdata,"",@progbits
; Kernel info:
; codeLenInByte = 2504
; NumSgprs: 32
; NumVgprs: 18
; NumAgprs: 0
; TotalNumVgprs: 18
; ScratchSize: 0
; MemoryBound: 0
; FloatMode: 240
; IeeeMode: 1
; LDSByteSize: 0 bytes/workgroup (compile time only)
; SGPRBlocks: 3
; VGPRBlocks: 2
; NumSGPRsForWavesPerEU: 32
; NumVGPRsForWavesPerEU: 18
; AccumOffset: 20
; Occupancy: 8
; WaveLimiterHint : 0
; COMPUTE_PGM_RSRC2:SCRATCH_EN: 0
; COMPUTE_PGM_RSRC2:USER_SGPR: 2
; COMPUTE_PGM_RSRC2:TRAP_HANDLER: 0
; COMPUTE_PGM_RSRC2:TGID_X_EN: 1
; COMPUTE_PGM_RSRC2:TGID_Y_EN: 0
; COMPUTE_PGM_RSRC2:TGID_Z_EN: 0
; COMPUTE_PGM_RSRC2:TIDIG_COMP_CNT: 0
; COMPUTE_PGM_RSRC3_GFX90A:ACCUM_OFFSET: 4
; COMPUTE_PGM_RSRC3_GFX90A:TG_SPLIT: 0
	.section	.text._ZN4vllm30concat_and_cache_ds_mla_kernelIfhLNS_18Fp8KVCacheDataTypeE1EEEvPKT_S4_PT0_PKliiiiiiiPKf,"axG",@progbits,_ZN4vllm30concat_and_cache_ds_mla_kernelIfhLNS_18Fp8KVCacheDataTypeE1EEEvPKT_S4_PT0_PKliiiiiiiPKf,comdat
	.protected	_ZN4vllm30concat_and_cache_ds_mla_kernelIfhLNS_18Fp8KVCacheDataTypeE1EEEvPKT_S4_PT0_PKliiiiiiiPKf ; -- Begin function _ZN4vllm30concat_and_cache_ds_mla_kernelIfhLNS_18Fp8KVCacheDataTypeE1EEEvPKT_S4_PT0_PKliiiiiiiPKf
	.globl	_ZN4vllm30concat_and_cache_ds_mla_kernelIfhLNS_18Fp8KVCacheDataTypeE1EEEvPKT_S4_PT0_PKliiiiiiiPKf
	.p2align	8
	.type	_ZN4vllm30concat_and_cache_ds_mla_kernelIfhLNS_18Fp8KVCacheDataTypeE1EEEvPKT_S4_PT0_PKliiiiiiiPKf,@function
_ZN4vllm30concat_and_cache_ds_mla_kernelIfhLNS_18Fp8KVCacheDataTypeE1EEEvPKT_S4_PT0_PKliiiiiiiPKf: ; @_ZN4vllm30concat_and_cache_ds_mla_kernelIfhLNS_18Fp8KVCacheDataTypeE1EEEvPKT_S4_PT0_PKliiiiiiiPKf
; %bb.0:
	s_load_dwordx2 s[4:5], s[0:1], 0x18
	s_mov_b32 s3, 0
	s_lshl_b64 s[6:7], s[2:3], 3
	s_waitcnt lgkmcnt(0)
	s_add_u32 s4, s4, s6
	s_addc_u32 s5, s5, s7
	s_load_dwordx2 s[10:11], s[4:5], 0x0
	s_waitcnt lgkmcnt(0)
	v_cmp_lt_i64_e64 s[4:5], s[10:11], 0
	s_and_b64 vcc, exec, s[4:5]
	s_cbranch_vccnz .LBB16_10
; %bb.1:
	s_load_dword s12, s[0:1], 0x38
	s_load_dwordx2 s[8:9], s[0:1], 0x10
	s_waitcnt lgkmcnt(0)
	s_ashr_i32 s13, s12, 31
	s_or_b64 s[4:5], s[10:11], s[12:13]
	s_mov_b32 s4, s3
	s_cmp_lg_u64 s[4:5], 0
	s_cbranch_scc0 .LBB16_11
; %bb.2:
	s_add_u32 s4, s12, s13
	s_mov_b32 s14, s13
	s_mov_b32 s15, s13
	s_addc_u32 s5, s13, s13
	s_xor_b64 s[16:17], s[4:5], s[14:15]
	v_cvt_f32_u32_e32 v1, s16
	v_cvt_f32_u32_e32 v2, s17
	s_sub_u32 s3, 0, s16
	s_subb_u32 s4, 0, s17
	v_fmamk_f32 v1, v2, 0x4f800000, v1
	v_rcp_f32_e32 v1, v1
	s_nop 0
	v_mul_f32_e32 v1, 0x5f7ffffc, v1
	v_mul_f32_e32 v2, 0x2f800000, v1
	v_trunc_f32_e32 v2, v2
	v_fmamk_f32 v1, v2, 0xcf800000, v1
	v_cvt_u32_f32_e32 v2, v2
	v_cvt_u32_f32_e32 v1, v1
	v_readfirstlane_b32 s5, v2
	v_readfirstlane_b32 s18, v1
	s_mul_i32 s19, s3, s5
	s_mul_hi_u32 s21, s3, s18
	s_mul_i32 s20, s4, s18
	s_add_i32 s19, s21, s19
	s_add_i32 s19, s19, s20
	s_mul_i32 s22, s3, s18
	s_mul_hi_u32 s20, s18, s19
	s_mul_i32 s21, s18, s19
	s_mul_hi_u32 s18, s18, s22
	s_add_u32 s18, s18, s21
	s_addc_u32 s20, 0, s20
	s_mul_hi_u32 s23, s5, s22
	s_mul_i32 s22, s5, s22
	s_add_u32 s18, s18, s22
	s_mul_hi_u32 s21, s5, s19
	s_addc_u32 s18, s20, s23
	s_addc_u32 s20, s21, 0
	s_mul_i32 s19, s5, s19
	s_add_u32 s18, s18, s19
	s_addc_u32 s19, 0, s20
	v_add_co_u32_e32 v1, vcc, s18, v1
	s_cmp_lg_u64 vcc, 0
	s_addc_u32 s5, s5, s19
	v_readfirstlane_b32 s19, v1
	s_mul_i32 s18, s3, s5
	s_mul_hi_u32 s20, s3, s19
	s_add_i32 s18, s20, s18
	s_mul_i32 s4, s4, s19
	s_add_i32 s18, s18, s4
	s_mul_i32 s3, s3, s19
	s_mul_hi_u32 s20, s5, s3
	s_mul_i32 s21, s5, s3
	s_mul_i32 s23, s19, s18
	s_mul_hi_u32 s3, s19, s3
	s_mul_hi_u32 s22, s19, s18
	s_add_u32 s3, s3, s23
	s_addc_u32 s19, 0, s22
	s_add_u32 s3, s3, s21
	s_mul_hi_u32 s4, s5, s18
	s_addc_u32 s3, s19, s20
	s_addc_u32 s4, s4, 0
	s_mul_i32 s18, s5, s18
	s_add_u32 s3, s3, s18
	s_addc_u32 s4, 0, s4
	v_add_co_u32_e32 v1, vcc, s3, v1
	s_cmp_lg_u64 vcc, 0
	s_addc_u32 s3, s5, s4
	s_ashr_i32 s18, s11, 31
	s_add_u32 s4, s10, s18
	s_mov_b32 s19, s18
	s_addc_u32 s5, s11, s18
	s_xor_b64 s[20:21], s[4:5], s[18:19]
	v_readfirstlane_b32 s22, v1
	s_mul_i32 s5, s20, s3
	s_mul_hi_u32 s23, s20, s22
	s_mul_hi_u32 s4, s20, s3
	s_add_u32 s5, s23, s5
	s_addc_u32 s4, 0, s4
	s_mul_hi_u32 s24, s21, s22
	s_mul_i32 s22, s21, s22
	s_add_u32 s5, s5, s22
	s_mul_hi_u32 s23, s21, s3
	s_addc_u32 s4, s4, s24
	s_addc_u32 s5, s23, 0
	s_mul_i32 s3, s21, s3
	s_add_u32 s3, s4, s3
	s_addc_u32 s22, 0, s5
	s_mul_i32 s4, s16, s22
	s_mul_hi_u32 s5, s16, s3
	s_add_i32 s4, s5, s4
	s_mul_i32 s5, s17, s3
	s_add_i32 s23, s4, s5
	s_mul_i32 s5, s16, s3
	v_mov_b32_e32 v1, s5
	s_sub_i32 s4, s21, s23
	v_sub_co_u32_e32 v1, vcc, s20, v1
	s_cmp_lg_u64 vcc, 0
	s_subb_u32 s20, s4, s17
	v_subrev_co_u32_e64 v2, s[4:5], s16, v1
	s_cmp_lg_u64 s[4:5], 0
	s_subb_u32 s4, s20, 0
	s_cmp_ge_u32 s4, s17
	v_readfirstlane_b32 s20, v2
	s_cselect_b32 s5, -1, 0
	s_cmp_ge_u32 s20, s16
	s_cselect_b32 s20, -1, 0
	s_cmp_eq_u32 s4, s17
	s_cselect_b32 s4, s20, s5
	s_add_u32 s5, s3, 1
	s_addc_u32 s20, s22, 0
	s_add_u32 s24, s3, 2
	s_addc_u32 s25, s22, 0
	s_cmp_lg_u32 s4, 0
	s_cselect_b32 s4, s24, s5
	s_cselect_b32 s5, s25, s20
	s_cmp_lg_u64 vcc, 0
	s_subb_u32 s20, s21, s23
	s_cmp_ge_u32 s20, s17
	v_readfirstlane_b32 s23, v1
	s_cselect_b32 s21, -1, 0
	s_cmp_ge_u32 s23, s16
	s_cselect_b32 s16, -1, 0
	s_cmp_eq_u32 s20, s17
	s_cselect_b32 s16, s16, s21
	s_cmp_lg_u32 s16, 0
	s_cselect_b32 s5, s5, s22
	s_cselect_b32 s4, s4, s3
	s_xor_b64 s[14:15], s[18:19], s[14:15]
	s_xor_b64 s[4:5], s[4:5], s[14:15]
	s_sub_u32 s14, s4, s14
	s_subb_u32 s15, s5, s15
	s_cbranch_execnz .LBB16_4
.LBB16_3:
	v_cvt_f32_u32_e32 v1, s12
	s_sub_i32 s3, 0, s12
	s_mov_b32 s15, 0
	v_rcp_iflag_f32_e32 v1, v1
	s_nop 0
	v_mul_f32_e32 v1, 0x4f7ffffe, v1
	v_cvt_u32_f32_e32 v1, v1
	s_nop 0
	v_readfirstlane_b32 s4, v1
	s_mul_i32 s3, s3, s4
	s_mul_hi_u32 s3, s4, s3
	s_add_i32 s4, s4, s3
	s_mul_hi_u32 s3, s10, s4
	s_mul_i32 s5, s3, s12
	s_sub_i32 s5, s10, s5
	s_add_i32 s4, s3, 1
	s_sub_i32 s6, s5, s12
	s_cmp_ge_u32 s5, s12
	s_cselect_b32 s3, s4, s3
	s_cselect_b32 s5, s6, s5
	s_add_i32 s4, s3, 1
	s_cmp_ge_u32 s5, s12
	s_cselect_b32 s14, s4, s3
.LBB16_4:
	s_load_dwordx4 s[4:7], s[0:1], 0x20
	s_load_dword s3, s[0:1], 0x30
	s_mul_i32 s13, s14, s13
	s_mul_hi_u32 s16, s14, s12
	s_add_i32 s13, s16, s13
	s_mul_i32 s16, s15, s12
	s_add_i32 s13, s13, s16
	s_mul_i32 s12, s14, s12
	s_sub_u32 s10, s10, s12
	s_subb_u32 s11, s11, s13
	s_waitcnt lgkmcnt(0)
	s_ashr_i32 s12, s4, 31
	s_mul_hi_u32 s13, s14, s4
	s_mul_i32 s12, s14, s12
	s_add_i32 s12, s13, s12
	s_mul_i32 s13, s15, s4
	s_add_i32 s12, s12, s13
	s_ashr_i32 s13, s5, 31
	s_mul_i32 s4, s14, s4
	s_mul_i32 s13, s10, s13
	s_mul_hi_u32 s14, s10, s5
	s_add_i32 s13, s14, s13
	s_mul_i32 s11, s11, s5
	s_add_i32 s13, s13, s11
	s_add_u32 s4, s8, s4
	s_mul_i32 s10, s10, s5
	s_addc_u32 s5, s9, s12
	s_add_u32 s4, s4, s10
	s_addc_u32 s5, s5, s13
	v_cmp_gt_u32_e32 vcc, 64, v0
	s_and_saveexec_b64 s[8:9], vcc
	s_xor_b64 s[8:9], exec, s[8:9]
	s_cbranch_execz .LBB16_8
; %bb.5:
	s_load_dwordx2 s[10:11], s[0:1], 0x0
	s_ashr_i32 s12, s6, 31
	s_mul_hi_u32 s13, s6, s2
	s_mul_i32 s12, s12, s2
	s_add_i32 s13, s13, s12
	s_mul_i32 s12, s6, s2
	s_lshl_b64 s[12:13], s[12:13], 2
	s_waitcnt lgkmcnt(0)
	s_add_u32 s10, s10, s12
	s_addc_u32 s11, s11, s13
	v_lshlrev_b32_e32 v1, 5, v0
	global_load_dwordx4 v[2:5], v1, s[10:11]
	v_mbcnt_lo_u32_b32 v1, -1, 0
	v_mbcnt_hi_u32_b32 v1, -1, v1
	v_and_b32_e32 v6, 0x70, v1
	v_xor_b32_e32 v7, 8, v1
	v_add_u32_e32 v6, 16, v6
	v_cmp_lt_i32_e32 vcc, v7, v6
	s_mov_b32 s6, 0x43600000
	v_and_b32_e32 v10, 15, v0
	v_cndmask_b32_e32 v7, v1, v7, vcc
	v_lshlrev_b32_e32 v7, 2, v7
	s_waitcnt vmcnt(0)
	v_max_f32_e64 v8, |v5|, |v5|
	v_max_f32_e64 v9, |v4|, |v4|
	v_max_f32_e32 v8, v9, v8
	v_max3_f32 v8, |v2|, |v3|, v8
	ds_bpermute_b32 v7, v7, v8
	v_xor_b32_e32 v9, 4, v1
	v_cmp_lt_i32_e32 vcc, v9, v6
	s_waitcnt lgkmcnt(0)
	v_max_f32_e32 v7, v7, v7
	v_cndmask_b32_e32 v9, v1, v9, vcc
	v_lshlrev_b32_e32 v9, 2, v9
	v_max_f32_e32 v7, v8, v7
	ds_bpermute_b32 v8, v9, v7
	v_xor_b32_e32 v9, 2, v1
	v_cmp_lt_i32_e32 vcc, v9, v6
	s_waitcnt lgkmcnt(0)
	v_max_f32_e32 v8, v8, v8
	v_cndmask_b32_e32 v9, v1, v9, vcc
	v_lshlrev_b32_e32 v9, 2, v9
	v_max_f32_e32 v7, v7, v8
	;; [unrolled: 8-line block ×3, first 2 shown]
	ds_bpermute_b32 v1, v1, v8
	v_lshlrev_b32_e32 v6, 3, v0
	v_mov_b32_e32 v7, 0
	s_waitcnt lgkmcnt(0)
	v_max_f32_e32 v1, v1, v1
	v_max_f32_e32 v1, v8, v1
	v_div_scale_f32 v8, s[10:11], s6, s6, v1
	v_rcp_f32_e32 v9, v8
	v_div_scale_f32 v11, vcc, v1, s6, v1
	v_fma_f32 v12, -v8, v9, 1.0
	v_fmac_f32_e32 v9, v12, v9
	v_mul_f32_e32 v12, v11, v9
	v_fma_f32 v13, -v8, v12, v11
	v_fmac_f32_e32 v12, v13, v9
	v_fma_f32 v8, -v8, v12, v11
	v_div_fmas_f32 v8, v8, v9, v12
	v_div_fixup_f32 v1, v8, s6, v1
	v_max_f32_e32 v1, 0x800000, v1
	v_cmp_eq_u32_e32 vcc, 0, v10
	s_and_saveexec_b64 s[10:11], vcc
	s_cbranch_execz .LBB16_7
; %bb.6:
	s_ashr_i32 s6, s3, 31
	s_lshr_b32 s6, s6, 30
	s_add_i32 s6, s3, s6
	v_lshrrev_b32_e32 v0, 4, v0
	s_ashr_i32 s6, s6, 2
	v_add_u32_e32 v8, s6, v0
	v_ashrrev_i32_e32 v9, 31, v8
	v_lshl_add_u64 v[8:9], v[8:9], 2, s[4:5]
	global_store_dword v[8:9], v1, off
.LBB16_7:
	s_or_b64 exec, exec, s[10:11]
	v_div_scale_f32 v0, s[10:11], v1, v1, v2
	v_rcp_f32_e32 v8, v0
	v_div_scale_f32 v9, vcc, v2, v1, v2
	s_mov_b32 s6, 0x7f800000
	v_fma_f32 v10, -v0, v8, 1.0
	v_fmac_f32_e32 v8, v10, v8
	v_mul_f32_e32 v10, v9, v8
	v_fma_f32 v11, -v0, v10, v9
	v_fmac_f32_e32 v10, v11, v8
	v_fma_f32 v0, -v0, v10, v9
	v_div_scale_f32 v9, s[10:11], v1, v1, v3
	v_div_fmas_f32 v0, v0, v8, v10
	v_rcp_f32_e32 v10, v9
	v_div_fixup_f32 v0, v0, v1, v2
	s_mov_b32 s12, 0x43700000
	v_mov_b32_e32 v2, 0xc3700000
	v_med3_f32 v8, v0, s12, v2
	v_cmp_nlg_f32_e64 vcc, |v0|, s6
	s_nop 1
	v_cndmask_b32_e32 v0, v8, v0, vcc
	v_mov_b32_e32 v8, v7
	v_cvt_pk_fp8_f32 v8, v0, v0
	v_fma_f32 v0, -v9, v10, 1.0
	v_fmac_f32_e32 v10, v0, v10
	v_div_scale_f32 v0, vcc, v3, v1, v3
	v_mul_f32_e32 v11, v0, v10
	v_fma_f32 v12, -v9, v11, v0
	v_fmac_f32_e32 v11, v12, v10
	v_fma_f32 v0, -v9, v11, v0
	v_div_scale_f32 v9, s[10:11], v1, v1, v4
	v_div_fmas_f32 v0, v0, v10, v11
	v_rcp_f32_e32 v10, v9
	v_div_fixup_f32 v0, v0, v1, v3
	v_med3_f32 v3, v0, s12, v2
	v_cmp_nlg_f32_e64 vcc, |v0|, s6
	s_nop 1
	v_cndmask_b32_e32 v0, v3, v0, vcc
	v_mov_b32_e32 v3, v7
	v_cvt_pk_fp8_f32 v3, v0, v0
	v_fma_f32 v0, -v9, v10, 1.0
	v_fmac_f32_e32 v10, v0, v10
	v_div_scale_f32 v0, vcc, v4, v1, v4
	v_mul_f32_e32 v11, v0, v10
	v_fma_f32 v12, -v9, v11, v0
	v_fmac_f32_e32 v11, v12, v10
	v_fma_f32 v0, -v9, v11, v0
	v_div_scale_f32 v9, s[10:11], v1, v1, v5
	v_div_fmas_f32 v0, v0, v10, v11
	v_rcp_f32_e32 v10, v9
	v_div_fixup_f32 v0, v0, v1, v4
	v_med3_f32 v4, v0, s12, v2
	v_cmp_nlg_f32_e64 vcc, |v0|, s6
	s_nop 1
	v_cndmask_b32_e32 v0, v4, v0, vcc
	v_mov_b32_e32 v4, v7
	v_cvt_pk_fp8_f32 v4, v0, v0
	v_fma_f32 v0, -v9, v10, 1.0
	v_fmac_f32_e32 v10, v0, v10
	v_div_scale_f32 v0, vcc, v5, v1, v5
	v_mul_f32_e32 v11, v0, v10
	v_fma_f32 v12, -v9, v11, v0
	v_fmac_f32_e32 v11, v12, v10
	v_fma_f32 v0, -v9, v11, v0
	v_div_fmas_f32 v0, v0, v10, v11
	v_div_fixup_f32 v0, v0, v1, v5
	v_med3_f32 v1, v0, s12, v2
	v_cmp_nlg_f32_e64 vcc, |v0|, s6
	v_mov_b32_e32 v2, v7
	s_nop 0
	v_cndmask_b32_e32 v0, v1, v0, vcc
	v_mov_b32_e32 v1, v7
	v_cvt_pk_fp8_f32 v1, v0, v0
	v_cvt_pk_fp8_f32 v2, s0, v0
	v_lshlrev_b16_e32 v0, 8, v3
	v_or_b32_sdwa v0, v8, v0 dst_sel:DWORD dst_unused:UNUSED_PAD src0_sel:BYTE_0 src1_sel:DWORD
	v_lshlrev_b16_e32 v1, 8, v1
	v_or_b32_sdwa v1, v4, v1 dst_sel:WORD_1 dst_unused:UNUSED_PAD src0_sel:BYTE_0 src1_sel:DWORD
	s_nop 0
	v_or_b32_sdwa v0, v0, v1 dst_sel:DWORD dst_unused:UNUSED_PAD src0_sel:WORD_0 src1_sel:DWORD
	v_lshlrev_b16_e32 v1, 8, v2
	v_or_b32_sdwa v1, v2, v1 dst_sel:DWORD dst_unused:UNUSED_PAD src0_sel:BYTE_0 src1_sel:DWORD
	v_lshlrev_b32_e32 v2, 16, v1
	v_or_b32_sdwa v1, v1, v2 dst_sel:DWORD dst_unused:UNUSED_PAD src0_sel:WORD_0 src1_sel:DWORD
	v_lshl_add_u64 v[2:3], s[4:5], 0, v[6:7]
	global_store_dwordx2 v[2:3], v[0:1], off
                                        ; implicit-def: $vgpr0
.LBB16_8:
	s_andn2_saveexec_b64 s[8:9], s[8:9]
	s_cbranch_execz .LBB16_10
; %bb.9:
	s_load_dwordx2 s[0:1], s[0:1], 0x8
	s_ashr_i32 s6, s7, 31
	s_mul_hi_u32 s8, s7, s2
	s_mul_i32 s6, s6, s2
	v_lshlrev_b16_e32 v0, 1, v0
	s_add_i32 s9, s8, s6
	s_mul_i32 s8, s7, s2
	v_xor_b32_e32 v0, 0x80, v0
	s_lshl_b64 s[6:7], s[8:9], 2
	v_bfe_i32 v0, v0, 0, 8
	s_waitcnt lgkmcnt(0)
	s_add_u32 s0, s0, s6
	v_ashrrev_i32_e32 v1, 31, v0
	s_addc_u32 s1, s1, s7
	v_lshl_add_u64 v[2:3], v[0:1], 2, s[0:1]
	global_load_dword v2, v[2:3], off
	s_lshr_b32 s0, s3, 31
	s_add_i32 s3, s3, s0
	s_ashr_i32 s0, s3, 1
	s_ashr_i32 s1, s0, 31
	v_lshl_add_u64 v[0:1], v[0:1], 0, s[0:1]
	v_lshl_add_u64 v[0:1], v[0:1], 2, s[4:5]
	s_waitcnt vmcnt(0)
	global_store_dword v[0:1], v2, off offset:32
.LBB16_10:
	s_endpgm
.LBB16_11:
                                        ; implicit-def: $sgpr14_sgpr15
	s_branch .LBB16_3
	.section	.rodata,"a",@progbits
	.p2align	6, 0x0
	.amdhsa_kernel _ZN4vllm30concat_and_cache_ds_mla_kernelIfhLNS_18Fp8KVCacheDataTypeE1EEEvPKT_S4_PT0_PKliiiiiiiPKf
		.amdhsa_group_segment_fixed_size 0
		.amdhsa_private_segment_fixed_size 0
		.amdhsa_kernarg_size 72
		.amdhsa_user_sgpr_count 2
		.amdhsa_user_sgpr_dispatch_ptr 0
		.amdhsa_user_sgpr_queue_ptr 0
		.amdhsa_user_sgpr_kernarg_segment_ptr 1
		.amdhsa_user_sgpr_dispatch_id 0
		.amdhsa_user_sgpr_kernarg_preload_length 0
		.amdhsa_user_sgpr_kernarg_preload_offset 0
		.amdhsa_user_sgpr_private_segment_size 0
		.amdhsa_uses_dynamic_stack 0
		.amdhsa_enable_private_segment 0
		.amdhsa_system_sgpr_workgroup_id_x 1
		.amdhsa_system_sgpr_workgroup_id_y 0
		.amdhsa_system_sgpr_workgroup_id_z 0
		.amdhsa_system_sgpr_workgroup_info 0
		.amdhsa_system_vgpr_workitem_id 0
		.amdhsa_next_free_vgpr 14
		.amdhsa_next_free_sgpr 26
		.amdhsa_accum_offset 16
		.amdhsa_reserve_vcc 1
		.amdhsa_float_round_mode_32 0
		.amdhsa_float_round_mode_16_64 0
		.amdhsa_float_denorm_mode_32 3
		.amdhsa_float_denorm_mode_16_64 3
		.amdhsa_dx10_clamp 1
		.amdhsa_ieee_mode 1
		.amdhsa_fp16_overflow 0
		.amdhsa_tg_split 0
		.amdhsa_exception_fp_ieee_invalid_op 0
		.amdhsa_exception_fp_denorm_src 0
		.amdhsa_exception_fp_ieee_div_zero 0
		.amdhsa_exception_fp_ieee_overflow 0
		.amdhsa_exception_fp_ieee_underflow 0
		.amdhsa_exception_fp_ieee_inexact 0
		.amdhsa_exception_int_div_zero 0
	.end_amdhsa_kernel
	.section	.text._ZN4vllm30concat_and_cache_ds_mla_kernelIfhLNS_18Fp8KVCacheDataTypeE1EEEvPKT_S4_PT0_PKliiiiiiiPKf,"axG",@progbits,_ZN4vllm30concat_and_cache_ds_mla_kernelIfhLNS_18Fp8KVCacheDataTypeE1EEEvPKT_S4_PT0_PKliiiiiiiPKf,comdat
.Lfunc_end16:
	.size	_ZN4vllm30concat_and_cache_ds_mla_kernelIfhLNS_18Fp8KVCacheDataTypeE1EEEvPKT_S4_PT0_PKliiiiiiiPKf, .Lfunc_end16-_ZN4vllm30concat_and_cache_ds_mla_kernelIfhLNS_18Fp8KVCacheDataTypeE1EEEvPKT_S4_PT0_PKliiiiiiiPKf
                                        ; -- End function
	.section	.AMDGPU.csdata,"",@progbits
; Kernel info:
; codeLenInByte = 1988
; NumSgprs: 32
; NumVgprs: 14
; NumAgprs: 0
; TotalNumVgprs: 14
; ScratchSize: 0
; MemoryBound: 0
; FloatMode: 240
; IeeeMode: 1
; LDSByteSize: 0 bytes/workgroup (compile time only)
; SGPRBlocks: 3
; VGPRBlocks: 1
; NumSGPRsForWavesPerEU: 32
; NumVGPRsForWavesPerEU: 14
; AccumOffset: 16
; Occupancy: 8
; WaveLimiterHint : 0
; COMPUTE_PGM_RSRC2:SCRATCH_EN: 0
; COMPUTE_PGM_RSRC2:USER_SGPR: 2
; COMPUTE_PGM_RSRC2:TRAP_HANDLER: 0
; COMPUTE_PGM_RSRC2:TGID_X_EN: 1
; COMPUTE_PGM_RSRC2:TGID_Y_EN: 0
; COMPUTE_PGM_RSRC2:TGID_Z_EN: 0
; COMPUTE_PGM_RSRC2:TIDIG_COMP_CNT: 0
; COMPUTE_PGM_RSRC3_GFX90A:ACCUM_OFFSET: 3
; COMPUTE_PGM_RSRC3_GFX90A:TG_SPLIT: 0
	.section	.text._ZN4vllm30concat_and_cache_ds_mla_kernelIthLNS_18Fp8KVCacheDataTypeE1EEEvPKT_S4_PT0_PKliiiiiiiPKf,"axG",@progbits,_ZN4vllm30concat_and_cache_ds_mla_kernelIthLNS_18Fp8KVCacheDataTypeE1EEEvPKT_S4_PT0_PKliiiiiiiPKf,comdat
	.protected	_ZN4vllm30concat_and_cache_ds_mla_kernelIthLNS_18Fp8KVCacheDataTypeE1EEEvPKT_S4_PT0_PKliiiiiiiPKf ; -- Begin function _ZN4vllm30concat_and_cache_ds_mla_kernelIthLNS_18Fp8KVCacheDataTypeE1EEEvPKT_S4_PT0_PKliiiiiiiPKf
	.globl	_ZN4vllm30concat_and_cache_ds_mla_kernelIthLNS_18Fp8KVCacheDataTypeE1EEEvPKT_S4_PT0_PKliiiiiiiPKf
	.p2align	8
	.type	_ZN4vllm30concat_and_cache_ds_mla_kernelIthLNS_18Fp8KVCacheDataTypeE1EEEvPKT_S4_PT0_PKliiiiiiiPKf,@function
_ZN4vllm30concat_and_cache_ds_mla_kernelIthLNS_18Fp8KVCacheDataTypeE1EEEvPKT_S4_PT0_PKliiiiiiiPKf: ; @_ZN4vllm30concat_and_cache_ds_mla_kernelIthLNS_18Fp8KVCacheDataTypeE1EEEvPKT_S4_PT0_PKliiiiiiiPKf
; %bb.0:
	s_load_dwordx2 s[4:5], s[0:1], 0x18
	s_mov_b32 s3, 0
	s_lshl_b64 s[6:7], s[2:3], 3
	s_waitcnt lgkmcnt(0)
	s_add_u32 s4, s4, s6
	s_addc_u32 s5, s5, s7
	s_load_dwordx2 s[10:11], s[4:5], 0x0
	s_waitcnt lgkmcnt(0)
	v_cmp_lt_i64_e64 s[4:5], s[10:11], 0
	s_and_b64 vcc, exec, s[4:5]
	s_cbranch_vccnz .LBB17_10
; %bb.1:
	s_load_dword s12, s[0:1], 0x38
	s_load_dwordx2 s[8:9], s[0:1], 0x10
	s_waitcnt lgkmcnt(0)
	s_ashr_i32 s13, s12, 31
	s_or_b64 s[4:5], s[10:11], s[12:13]
	s_mov_b32 s4, s3
	s_cmp_lg_u64 s[4:5], 0
	s_cbranch_scc0 .LBB17_11
; %bb.2:
	s_add_u32 s4, s12, s13
	s_mov_b32 s14, s13
	s_mov_b32 s15, s13
	s_addc_u32 s5, s13, s13
	s_xor_b64 s[16:17], s[4:5], s[14:15]
	v_cvt_f32_u32_e32 v1, s16
	v_cvt_f32_u32_e32 v2, s17
	s_sub_u32 s3, 0, s16
	s_subb_u32 s4, 0, s17
	v_fmamk_f32 v1, v2, 0x4f800000, v1
	v_rcp_f32_e32 v1, v1
	s_nop 0
	v_mul_f32_e32 v1, 0x5f7ffffc, v1
	v_mul_f32_e32 v2, 0x2f800000, v1
	v_trunc_f32_e32 v2, v2
	v_fmamk_f32 v1, v2, 0xcf800000, v1
	v_cvt_u32_f32_e32 v2, v2
	v_cvt_u32_f32_e32 v1, v1
	v_readfirstlane_b32 s5, v2
	v_readfirstlane_b32 s18, v1
	s_mul_i32 s19, s3, s5
	s_mul_hi_u32 s21, s3, s18
	s_mul_i32 s20, s4, s18
	s_add_i32 s19, s21, s19
	s_add_i32 s19, s19, s20
	s_mul_i32 s22, s3, s18
	s_mul_hi_u32 s20, s18, s19
	s_mul_i32 s21, s18, s19
	s_mul_hi_u32 s18, s18, s22
	s_add_u32 s18, s18, s21
	s_addc_u32 s20, 0, s20
	s_mul_hi_u32 s23, s5, s22
	s_mul_i32 s22, s5, s22
	s_add_u32 s18, s18, s22
	s_mul_hi_u32 s21, s5, s19
	s_addc_u32 s18, s20, s23
	s_addc_u32 s20, s21, 0
	s_mul_i32 s19, s5, s19
	s_add_u32 s18, s18, s19
	s_addc_u32 s19, 0, s20
	v_add_co_u32_e32 v1, vcc, s18, v1
	s_cmp_lg_u64 vcc, 0
	s_addc_u32 s5, s5, s19
	v_readfirstlane_b32 s19, v1
	s_mul_i32 s18, s3, s5
	s_mul_hi_u32 s20, s3, s19
	s_add_i32 s18, s20, s18
	s_mul_i32 s4, s4, s19
	s_add_i32 s18, s18, s4
	s_mul_i32 s3, s3, s19
	s_mul_hi_u32 s20, s5, s3
	s_mul_i32 s21, s5, s3
	s_mul_i32 s23, s19, s18
	s_mul_hi_u32 s3, s19, s3
	s_mul_hi_u32 s22, s19, s18
	s_add_u32 s3, s3, s23
	s_addc_u32 s19, 0, s22
	s_add_u32 s3, s3, s21
	s_mul_hi_u32 s4, s5, s18
	s_addc_u32 s3, s19, s20
	s_addc_u32 s4, s4, 0
	s_mul_i32 s18, s5, s18
	s_add_u32 s3, s3, s18
	s_addc_u32 s4, 0, s4
	v_add_co_u32_e32 v1, vcc, s3, v1
	s_cmp_lg_u64 vcc, 0
	s_addc_u32 s3, s5, s4
	s_ashr_i32 s18, s11, 31
	s_add_u32 s4, s10, s18
	s_mov_b32 s19, s18
	s_addc_u32 s5, s11, s18
	s_xor_b64 s[20:21], s[4:5], s[18:19]
	v_readfirstlane_b32 s22, v1
	s_mul_i32 s5, s20, s3
	s_mul_hi_u32 s23, s20, s22
	s_mul_hi_u32 s4, s20, s3
	s_add_u32 s5, s23, s5
	s_addc_u32 s4, 0, s4
	s_mul_hi_u32 s24, s21, s22
	s_mul_i32 s22, s21, s22
	s_add_u32 s5, s5, s22
	s_mul_hi_u32 s23, s21, s3
	s_addc_u32 s4, s4, s24
	s_addc_u32 s5, s23, 0
	s_mul_i32 s3, s21, s3
	s_add_u32 s3, s4, s3
	s_addc_u32 s22, 0, s5
	s_mul_i32 s4, s16, s22
	s_mul_hi_u32 s5, s16, s3
	s_add_i32 s4, s5, s4
	s_mul_i32 s5, s17, s3
	s_add_i32 s23, s4, s5
	s_mul_i32 s5, s16, s3
	v_mov_b32_e32 v1, s5
	s_sub_i32 s4, s21, s23
	v_sub_co_u32_e32 v1, vcc, s20, v1
	s_cmp_lg_u64 vcc, 0
	s_subb_u32 s20, s4, s17
	v_subrev_co_u32_e64 v2, s[4:5], s16, v1
	s_cmp_lg_u64 s[4:5], 0
	s_subb_u32 s4, s20, 0
	s_cmp_ge_u32 s4, s17
	v_readfirstlane_b32 s20, v2
	s_cselect_b32 s5, -1, 0
	s_cmp_ge_u32 s20, s16
	s_cselect_b32 s20, -1, 0
	s_cmp_eq_u32 s4, s17
	s_cselect_b32 s4, s20, s5
	s_add_u32 s5, s3, 1
	s_addc_u32 s20, s22, 0
	s_add_u32 s24, s3, 2
	s_addc_u32 s25, s22, 0
	s_cmp_lg_u32 s4, 0
	s_cselect_b32 s4, s24, s5
	s_cselect_b32 s5, s25, s20
	s_cmp_lg_u64 vcc, 0
	s_subb_u32 s20, s21, s23
	s_cmp_ge_u32 s20, s17
	v_readfirstlane_b32 s23, v1
	s_cselect_b32 s21, -1, 0
	s_cmp_ge_u32 s23, s16
	s_cselect_b32 s16, -1, 0
	s_cmp_eq_u32 s20, s17
	s_cselect_b32 s16, s16, s21
	s_cmp_lg_u32 s16, 0
	s_cselect_b32 s5, s5, s22
	s_cselect_b32 s4, s4, s3
	s_xor_b64 s[14:15], s[18:19], s[14:15]
	s_xor_b64 s[4:5], s[4:5], s[14:15]
	s_sub_u32 s14, s4, s14
	s_subb_u32 s15, s5, s15
	s_cbranch_execnz .LBB17_4
.LBB17_3:
	v_cvt_f32_u32_e32 v1, s12
	s_sub_i32 s3, 0, s12
	s_mov_b32 s15, 0
	v_rcp_iflag_f32_e32 v1, v1
	s_nop 0
	v_mul_f32_e32 v1, 0x4f7ffffe, v1
	v_cvt_u32_f32_e32 v1, v1
	s_nop 0
	v_readfirstlane_b32 s4, v1
	s_mul_i32 s3, s3, s4
	s_mul_hi_u32 s3, s4, s3
	s_add_i32 s4, s4, s3
	s_mul_hi_u32 s3, s10, s4
	s_mul_i32 s5, s3, s12
	s_sub_i32 s5, s10, s5
	s_add_i32 s4, s3, 1
	s_sub_i32 s6, s5, s12
	s_cmp_ge_u32 s5, s12
	s_cselect_b32 s3, s4, s3
	s_cselect_b32 s5, s6, s5
	s_add_i32 s4, s3, 1
	s_cmp_ge_u32 s5, s12
	s_cselect_b32 s14, s4, s3
.LBB17_4:
	s_load_dwordx4 s[4:7], s[0:1], 0x20
	s_load_dword s3, s[0:1], 0x30
	s_mul_i32 s13, s14, s13
	s_mul_hi_u32 s16, s14, s12
	s_add_i32 s13, s16, s13
	s_mul_i32 s16, s15, s12
	s_add_i32 s13, s13, s16
	s_mul_i32 s12, s14, s12
	s_sub_u32 s10, s10, s12
	s_subb_u32 s11, s11, s13
	s_waitcnt lgkmcnt(0)
	s_ashr_i32 s12, s4, 31
	s_mul_hi_u32 s13, s14, s4
	s_mul_i32 s12, s14, s12
	s_add_i32 s12, s13, s12
	s_mul_i32 s13, s15, s4
	s_add_i32 s12, s12, s13
	s_ashr_i32 s13, s5, 31
	s_mul_i32 s4, s14, s4
	s_mul_i32 s13, s10, s13
	s_mul_hi_u32 s14, s10, s5
	s_add_i32 s13, s14, s13
	s_mul_i32 s11, s11, s5
	s_add_i32 s13, s13, s11
	s_add_u32 s4, s8, s4
	s_mul_i32 s10, s10, s5
	s_addc_u32 s5, s9, s12
	s_add_u32 s4, s4, s10
	s_addc_u32 s5, s5, s13
	v_cmp_gt_u32_e32 vcc, 64, v0
	s_and_saveexec_b64 s[8:9], vcc
	s_xor_b64 s[8:9], exec, s[8:9]
	s_cbranch_execz .LBB17_8
; %bb.5:
	s_load_dwordx2 s[10:11], s[0:1], 0x0
	s_ashr_i32 s12, s6, 31
	s_mul_hi_u32 s13, s6, s2
	s_mul_i32 s12, s12, s2
	s_add_i32 s13, s13, s12
	s_mul_i32 s12, s6, s2
	s_lshl_b64 s[12:13], s[12:13], 1
	s_waitcnt lgkmcnt(0)
	s_add_u32 s10, s10, s12
	s_addc_u32 s11, s11, s13
	v_lshlrev_b32_e32 v1, 4, v0
	global_load_dwordx4 v[2:5], v1, s[10:11]
	v_mbcnt_lo_u32_b32 v1, -1, 0
	v_mbcnt_hi_u32_b32 v1, -1, v1
	v_and_b32_e32 v6, 0x70, v1
	v_xor_b32_e32 v7, 8, v1
	v_add_u32_e32 v6, 16, v6
	v_cmp_lt_i32_e32 vcc, v7, v6
	s_mov_b32 s6, 0x43600000
	s_waitcnt vmcnt(0)
	v_cvt_f32_u32_sdwa v8, v2 dst_sel:DWORD dst_unused:UNUSED_PAD src0_sel:WORD_0
	v_cvt_f32_u32_sdwa v9, v2 dst_sel:DWORD dst_unused:UNUSED_PAD src0_sel:WORD_1
	v_cvt_f32_u32_sdwa v10, v3 dst_sel:DWORD dst_unused:UNUSED_PAD src0_sel:WORD_0
	v_cvt_f32_u32_sdwa v11, v3 dst_sel:DWORD dst_unused:UNUSED_PAD src0_sel:WORD_1
	;; [unrolled: 2-line block ×4, first 2 shown]
	v_max_f32_e32 v8, v8, v9
	v_max_f32_e32 v9, v10, v11
	v_max_f32_e32 v10, v13, v14
	v_cndmask_b32_e32 v7, v1, v7, vcc
	v_max3_f32 v10, v12, v15, v10
	v_lshlrev_b32_e32 v7, 2, v7
	v_max3_f32 v8, v8, v9, v10
	ds_bpermute_b32 v7, v7, v8
	v_xor_b32_e32 v9, 4, v1
	v_cmp_lt_i32_e32 vcc, v9, v6
	v_and_b32_e32 v10, 15, v0
	s_waitcnt lgkmcnt(0)
	v_max_f32_e32 v7, v7, v7
	v_cndmask_b32_e32 v9, v1, v9, vcc
	v_lshlrev_b32_e32 v9, 2, v9
	v_max_f32_e32 v7, v8, v7
	ds_bpermute_b32 v8, v9, v7
	v_xor_b32_e32 v9, 2, v1
	v_cmp_lt_i32_e32 vcc, v9, v6
	s_waitcnt lgkmcnt(0)
	v_max_f32_e32 v8, v8, v8
	v_cndmask_b32_e32 v9, v1, v9, vcc
	v_lshlrev_b32_e32 v9, 2, v9
	v_max_f32_e32 v7, v7, v8
	ds_bpermute_b32 v8, v9, v7
	v_xor_b32_e32 v9, 1, v1
	v_cmp_lt_i32_e32 vcc, v9, v6
	s_waitcnt lgkmcnt(0)
	v_max_f32_e32 v6, v8, v8
	v_cndmask_b32_e32 v1, v1, v9, vcc
	v_lshlrev_b32_e32 v1, 2, v1
	v_max_f32_e32 v8, v7, v6
	ds_bpermute_b32 v1, v1, v8
	v_lshlrev_b32_e32 v6, 3, v0
	v_mov_b32_e32 v7, 0
	s_waitcnt lgkmcnt(0)
	v_max_f32_e32 v1, v1, v1
	v_max_f32_e32 v1, v8, v1
	v_div_scale_f32 v8, s[10:11], s6, s6, v1
	v_rcp_f32_e32 v9, v8
	v_div_scale_f32 v11, vcc, v1, s6, v1
	v_fma_f32 v12, -v8, v9, 1.0
	v_fmac_f32_e32 v9, v12, v9
	v_mul_f32_e32 v12, v11, v9
	v_fma_f32 v13, -v8, v12, v11
	v_fmac_f32_e32 v12, v13, v9
	v_fma_f32 v8, -v8, v12, v11
	v_div_fmas_f32 v8, v8, v9, v12
	v_div_fixup_f32 v1, v8, s6, v1
	v_max_f32_e32 v1, 0x800000, v1
	v_cmp_eq_u32_e32 vcc, 0, v10
	s_and_saveexec_b64 s[10:11], vcc
	s_cbranch_execz .LBB17_7
; %bb.6:
	s_ashr_i32 s6, s3, 31
	s_lshr_b32 s6, s6, 30
	s_add_i32 s6, s3, s6
	v_lshrrev_b32_e32 v0, 4, v0
	s_ashr_i32 s6, s6, 2
	v_add_u32_e32 v8, s6, v0
	v_ashrrev_i32_e32 v9, 31, v8
	v_lshl_add_u64 v[8:9], v[8:9], 2, s[4:5]
	global_store_dword v[8:9], v1, off
.LBB17_7:
	s_or_b64 exec, exec, s[10:11]
	v_cvt_f32_f16_e32 v0, v2
	v_cvt_f32_f16_sdwa v2, v2 dst_sel:DWORD dst_unused:UNUSED_PAD src0_sel:WORD_1
	s_mov_b32 s6, 0x7f800000
	s_mov_b32 s12, 0x43700000
	v_div_scale_f32 v8, s[10:11], v1, v1, v0
	v_rcp_f32_e32 v9, v8
	v_div_scale_f32 v10, vcc, v0, v1, v0
	v_fma_f32 v11, -v8, v9, 1.0
	v_fmac_f32_e32 v9, v11, v9
	v_mul_f32_e32 v11, v10, v9
	v_fma_f32 v12, -v8, v11, v10
	v_fmac_f32_e32 v11, v12, v9
	v_fma_f32 v8, -v8, v11, v10
	v_div_fmas_f32 v8, v8, v9, v11
	v_div_fixup_f32 v0, v8, v1, v0
	v_div_scale_f32 v8, s[10:11], v1, v1, v2
	v_rcp_f32_e32 v9, v8
	v_cvt_f16_f32_e32 v0, v0
	v_mov_b32_e32 v10, 0xc3700000
	v_fma_f32 v11, -v8, v9, 1.0
	v_fmac_f32_e32 v9, v11, v9
	v_div_scale_f32 v11, vcc, v2, v1, v2
	v_mul_f32_e32 v13, v11, v9
	v_fma_f32 v14, -v8, v13, v11
	v_fmac_f32_e32 v13, v14, v9
	v_fma_f32 v8, -v8, v13, v11
	v_div_fmas_f32 v8, v8, v9, v13
	v_div_fixup_f32 v2, v8, v1, v2
	v_cvt_f32_f16_e32 v8, v3
	v_cvt_f32_f16_e32 v0, v0
	v_cvt_f16_f32_e32 v2, v2
	v_cvt_f32_f16_sdwa v3, v3 dst_sel:DWORD dst_unused:UNUSED_PAD src0_sel:WORD_1
	v_div_scale_f32 v9, s[10:11], v1, v1, v8
	v_rcp_f32_e32 v11, v9
	v_med3_f32 v12, v0, s12, v10
	v_cmp_nlg_f32_e64 vcc, |v0|, s6
	v_cvt_f32_f16_e32 v2, v2
	v_fma_f32 v13, -v9, v11, 1.0
	v_cndmask_b32_e32 v0, v12, v0, vcc
	v_fmac_f32_e32 v11, v13, v11
	v_div_scale_f32 v13, vcc, v8, v1, v8
	v_mul_f32_e32 v14, v13, v11
	v_fma_f32 v15, -v9, v14, v13
	v_fmac_f32_e32 v14, v15, v11
	v_fma_f32 v9, -v9, v14, v13
	v_div_fmas_f32 v9, v9, v11, v14
	v_div_fixup_f32 v8, v9, v1, v8
	v_cvt_f16_f32_e32 v8, v8
	v_mov_b32_e32 v12, v7
	v_cvt_pk_fp8_f32 v12, v0, v0
	v_med3_f32 v0, v2, s12, v10
	v_cmp_nlg_f32_e64 vcc, |v2|, s6
	v_mov_b32_e32 v11, v7
	s_nop 0
	v_cndmask_b32_e32 v0, v0, v2, vcc
	v_cvt_f32_f16_e32 v2, v8
	v_div_scale_f32 v8, s[10:11], v1, v1, v3
	v_rcp_f32_e32 v9, v8
	v_cvt_pk_fp8_f32 v11, v0, v0
	v_med3_f32 v0, v2, s12, v10
	v_fma_f32 v13, -v8, v9, 1.0
	v_fmac_f32_e32 v9, v13, v9
	v_div_scale_f32 v13, vcc, v3, v1, v3
	v_mul_f32_e32 v14, v13, v9
	v_fma_f32 v15, -v8, v14, v13
	v_fmac_f32_e32 v14, v15, v9
	v_fma_f32 v8, -v8, v14, v13
	v_div_fmas_f32 v8, v8, v9, v14
	v_div_fixup_f32 v3, v8, v1, v3
	v_cvt_f16_f32_e32 v3, v3
	v_cvt_f32_f16_e32 v8, v4
	v_cmp_nlg_f32_e64 vcc, |v2|, s6
	v_cvt_f32_f16_sdwa v4, v4 dst_sel:DWORD dst_unused:UNUSED_PAD src0_sel:WORD_1
	v_mov_b32_e32 v13, v7
	v_cndmask_b32_e32 v0, v0, v2, vcc
	v_cvt_f32_f16_e32 v2, v3
	v_div_scale_f32 v3, s[10:11], v1, v1, v8
	v_rcp_f32_e32 v9, v3
	v_cvt_pk_fp8_f32 v13, v0, v0
	v_med3_f32 v0, v2, s12, v10
	v_fma_f32 v14, -v3, v9, 1.0
	v_fmac_f32_e32 v9, v14, v9
	v_div_scale_f32 v14, vcc, v8, v1, v8
	v_mul_f32_e32 v15, v14, v9
	v_fma_f32 v16, -v3, v15, v14
	v_fmac_f32_e32 v15, v16, v9
	v_fma_f32 v3, -v3, v15, v14
	v_div_fmas_f32 v3, v3, v9, v15
	v_div_fixup_f32 v3, v3, v1, v8
	v_cvt_f16_f32_e32 v3, v3
	v_cmp_nlg_f32_e64 vcc, |v2|, s6
	v_mov_b32_e32 v9, v7
	s_nop 0
	v_cndmask_b32_e32 v0, v0, v2, vcc
	v_cvt_f32_f16_e32 v2, v3
	v_div_scale_f32 v3, s[10:11], v1, v1, v4
	v_rcp_f32_e32 v8, v3
	v_cvt_pk_fp8_f32 v9, v0, v0
	v_med3_f32 v0, v2, s12, v10
	v_fma_f32 v14, -v3, v8, 1.0
	v_fmac_f32_e32 v8, v14, v8
	v_div_scale_f32 v14, vcc, v4, v1, v4
	v_mul_f32_e32 v15, v14, v8
	v_fma_f32 v16, -v3, v15, v14
	v_fmac_f32_e32 v15, v16, v8
	v_fma_f32 v3, -v3, v15, v14
	v_div_fmas_f32 v3, v3, v8, v15
	v_div_fixup_f32 v3, v3, v1, v4
	v_cvt_f16_f32_e32 v3, v3
	v_cvt_f32_f16_e32 v4, v5
	v_cmp_nlg_f32_e64 vcc, |v2|, s6
	v_cvt_f32_f16_sdwa v5, v5 dst_sel:DWORD dst_unused:UNUSED_PAD src0_sel:WORD_1
	v_mov_b32_e32 v14, v7
	v_cndmask_b32_e32 v0, v0, v2, vcc
	v_cvt_f32_f16_e32 v2, v3
	v_div_scale_f32 v3, s[10:11], v1, v1, v4
	v_rcp_f32_e32 v8, v3
	v_cvt_pk_fp8_f32 v14, v0, v0
	v_med3_f32 v0, v2, s12, v10
	v_fma_f32 v15, -v3, v8, 1.0
	v_fmac_f32_e32 v8, v15, v8
	v_div_scale_f32 v15, vcc, v4, v1, v4
	v_mul_f32_e32 v16, v15, v8
	v_fma_f32 v17, -v3, v16, v15
	v_fmac_f32_e32 v16, v17, v8
	v_fma_f32 v3, -v3, v16, v15
	v_div_fmas_f32 v3, v3, v8, v16
	v_div_fixup_f32 v3, v3, v1, v4
	v_div_scale_f32 v4, s[10:11], v1, v1, v5
	v_cvt_f16_f32_e32 v3, v3
	v_rcp_f32_e32 v8, v4
	v_cmp_nlg_f32_e64 vcc, |v2|, s6
	s_nop 1
	v_cndmask_b32_e32 v0, v0, v2, vcc
	v_cvt_f32_f16_e32 v2, v3
	v_fma_f32 v3, -v4, v8, 1.0
	v_fmac_f32_e32 v8, v3, v8
	v_div_scale_f32 v3, vcc, v5, v1, v5
	v_mul_f32_e32 v15, v3, v8
	v_fma_f32 v16, -v4, v15, v3
	v_fmac_f32_e32 v15, v16, v8
	v_fma_f32 v3, -v4, v15, v3
	v_div_fmas_f32 v3, v3, v8, v15
	v_div_fixup_f32 v1, v3, v1, v5
	v_cvt_f16_f32_e32 v1, v1
	v_mov_b32_e32 v3, v7
	v_cvt_pk_fp8_f32 v3, v0, v0
	v_med3_f32 v0, v2, s12, v10
	v_cvt_f32_f16_e32 v1, v1
	v_cmp_nlg_f32_e64 vcc, |v2|, s6
	v_med3_f32 v4, v1, s12, v10
	s_nop 0
	v_cndmask_b32_e32 v0, v0, v2, vcc
	v_cmp_nlg_f32_e64 vcc, |v1|, s6
	v_mov_b32_e32 v2, v7
	v_cvt_pk_fp8_f32 v2, v0, v0
	v_cndmask_b32_e32 v1, v4, v1, vcc
	v_mov_b32_e32 v4, v7
	v_cvt_pk_fp8_f32 v4, v1, v1
	v_lshlrev_b16_e32 v0, 8, v3
	v_or_b32_sdwa v0, v14, v0 dst_sel:DWORD dst_unused:UNUSED_PAD src0_sel:BYTE_0 src1_sel:DWORD
	v_lshlrev_b16_e32 v1, 8, v4
	v_or_b32_sdwa v1, v2, v1 dst_sel:WORD_1 dst_unused:UNUSED_PAD src0_sel:BYTE_0 src1_sel:DWORD
	v_lshlrev_b16_e32 v2, 8, v9
	v_or_b32_sdwa v1, v0, v1 dst_sel:DWORD dst_unused:UNUSED_PAD src0_sel:WORD_0 src1_sel:DWORD
	v_lshlrev_b16_e32 v0, 8, v11
	v_or_b32_sdwa v0, v12, v0 dst_sel:DWORD dst_unused:UNUSED_PAD src0_sel:BYTE_0 src1_sel:DWORD
	v_or_b32_sdwa v2, v13, v2 dst_sel:WORD_1 dst_unused:UNUSED_PAD src0_sel:BYTE_0 src1_sel:DWORD
	s_nop 0
	v_or_b32_sdwa v0, v0, v2 dst_sel:DWORD dst_unused:UNUSED_PAD src0_sel:WORD_0 src1_sel:DWORD
	v_lshl_add_u64 v[2:3], s[4:5], 0, v[6:7]
	global_store_dwordx2 v[2:3], v[0:1], off
                                        ; implicit-def: $vgpr0
.LBB17_8:
	s_andn2_saveexec_b64 s[8:9], s[8:9]
	s_cbranch_execz .LBB17_10
; %bb.9:
	s_load_dwordx2 s[0:1], s[0:1], 0x8
	s_ashr_i32 s6, s7, 31
	s_mul_hi_u32 s8, s7, s2
	s_mul_i32 s6, s6, s2
	v_lshlrev_b16_e32 v0, 1, v0
	s_add_i32 s9, s8, s6
	s_mul_i32 s8, s7, s2
	v_xor_b32_e32 v0, 0x80, v0
	s_lshl_b64 s[6:7], s[8:9], 1
	v_bfe_i32 v0, v0, 0, 8
	s_waitcnt lgkmcnt(0)
	s_add_u32 s0, s0, s6
	v_ashrrev_i32_e32 v1, 31, v0
	s_addc_u32 s1, s1, s7
	v_lshl_add_u64 v[2:3], v[0:1], 1, s[0:1]
	global_load_dword v2, v[2:3], off
	s_lshr_b32 s0, s3, 31
	s_add_i32 s3, s3, s0
	s_ashr_i32 s0, s3, 1
	s_ashr_i32 s1, s0, 31
	v_lshl_add_u64 v[0:1], v[0:1], 0, s[0:1]
	v_lshl_add_u64 v[0:1], v[0:1], 1, s[4:5]
	s_waitcnt vmcnt(0)
	global_store_dword v[0:1], v2, off offset:16
.LBB17_10:
	s_endpgm
.LBB17_11:
                                        ; implicit-def: $sgpr14_sgpr15
	s_branch .LBB17_3
	.section	.rodata,"a",@progbits
	.p2align	6, 0x0
	.amdhsa_kernel _ZN4vllm30concat_and_cache_ds_mla_kernelIthLNS_18Fp8KVCacheDataTypeE1EEEvPKT_S4_PT0_PKliiiiiiiPKf
		.amdhsa_group_segment_fixed_size 0
		.amdhsa_private_segment_fixed_size 0
		.amdhsa_kernarg_size 72
		.amdhsa_user_sgpr_count 2
		.amdhsa_user_sgpr_dispatch_ptr 0
		.amdhsa_user_sgpr_queue_ptr 0
		.amdhsa_user_sgpr_kernarg_segment_ptr 1
		.amdhsa_user_sgpr_dispatch_id 0
		.amdhsa_user_sgpr_kernarg_preload_length 0
		.amdhsa_user_sgpr_kernarg_preload_offset 0
		.amdhsa_user_sgpr_private_segment_size 0
		.amdhsa_uses_dynamic_stack 0
		.amdhsa_enable_private_segment 0
		.amdhsa_system_sgpr_workgroup_id_x 1
		.amdhsa_system_sgpr_workgroup_id_y 0
		.amdhsa_system_sgpr_workgroup_id_z 0
		.amdhsa_system_sgpr_workgroup_info 0
		.amdhsa_system_vgpr_workitem_id 0
		.amdhsa_next_free_vgpr 18
		.amdhsa_next_free_sgpr 26
		.amdhsa_accum_offset 20
		.amdhsa_reserve_vcc 1
		.amdhsa_float_round_mode_32 0
		.amdhsa_float_round_mode_16_64 0
		.amdhsa_float_denorm_mode_32 3
		.amdhsa_float_denorm_mode_16_64 3
		.amdhsa_dx10_clamp 1
		.amdhsa_ieee_mode 1
		.amdhsa_fp16_overflow 0
		.amdhsa_tg_split 0
		.amdhsa_exception_fp_ieee_invalid_op 0
		.amdhsa_exception_fp_denorm_src 0
		.amdhsa_exception_fp_ieee_div_zero 0
		.amdhsa_exception_fp_ieee_overflow 0
		.amdhsa_exception_fp_ieee_underflow 0
		.amdhsa_exception_fp_ieee_inexact 0
		.amdhsa_exception_int_div_zero 0
	.end_amdhsa_kernel
	.section	.text._ZN4vllm30concat_and_cache_ds_mla_kernelIthLNS_18Fp8KVCacheDataTypeE1EEEvPKT_S4_PT0_PKliiiiiiiPKf,"axG",@progbits,_ZN4vllm30concat_and_cache_ds_mla_kernelIthLNS_18Fp8KVCacheDataTypeE1EEEvPKT_S4_PT0_PKliiiiiiiPKf,comdat
.Lfunc_end17:
	.size	_ZN4vllm30concat_and_cache_ds_mla_kernelIthLNS_18Fp8KVCacheDataTypeE1EEEvPKT_S4_PT0_PKliiiiiiiPKf, .Lfunc_end17-_ZN4vllm30concat_and_cache_ds_mla_kernelIthLNS_18Fp8KVCacheDataTypeE1EEEvPKT_S4_PT0_PKliiiiiiiPKf
                                        ; -- End function
	.section	.AMDGPU.csdata,"",@progbits
; Kernel info:
; codeLenInByte = 2576
; NumSgprs: 32
; NumVgprs: 18
; NumAgprs: 0
; TotalNumVgprs: 18
; ScratchSize: 0
; MemoryBound: 0
; FloatMode: 240
; IeeeMode: 1
; LDSByteSize: 0 bytes/workgroup (compile time only)
; SGPRBlocks: 3
; VGPRBlocks: 2
; NumSGPRsForWavesPerEU: 32
; NumVGPRsForWavesPerEU: 18
; AccumOffset: 20
; Occupancy: 8
; WaveLimiterHint : 0
; COMPUTE_PGM_RSRC2:SCRATCH_EN: 0
; COMPUTE_PGM_RSRC2:USER_SGPR: 2
; COMPUTE_PGM_RSRC2:TRAP_HANDLER: 0
; COMPUTE_PGM_RSRC2:TGID_X_EN: 1
; COMPUTE_PGM_RSRC2:TGID_Y_EN: 0
; COMPUTE_PGM_RSRC2:TGID_Z_EN: 0
; COMPUTE_PGM_RSRC2:TIDIG_COMP_CNT: 0
; COMPUTE_PGM_RSRC3_GFX90A:ACCUM_OFFSET: 4
; COMPUTE_PGM_RSRC3_GFX90A:TG_SPLIT: 0
	.section	.text._ZN4vllm30concat_and_cache_ds_mla_kernelI14__hip_bfloat16hLNS_18Fp8KVCacheDataTypeE1EEEvPKT_S5_PT0_PKliiiiiiiPKf,"axG",@progbits,_ZN4vllm30concat_and_cache_ds_mla_kernelI14__hip_bfloat16hLNS_18Fp8KVCacheDataTypeE1EEEvPKT_S5_PT0_PKliiiiiiiPKf,comdat
	.protected	_ZN4vllm30concat_and_cache_ds_mla_kernelI14__hip_bfloat16hLNS_18Fp8KVCacheDataTypeE1EEEvPKT_S5_PT0_PKliiiiiiiPKf ; -- Begin function _ZN4vllm30concat_and_cache_ds_mla_kernelI14__hip_bfloat16hLNS_18Fp8KVCacheDataTypeE1EEEvPKT_S5_PT0_PKliiiiiiiPKf
	.globl	_ZN4vllm30concat_and_cache_ds_mla_kernelI14__hip_bfloat16hLNS_18Fp8KVCacheDataTypeE1EEEvPKT_S5_PT0_PKliiiiiiiPKf
	.p2align	8
	.type	_ZN4vllm30concat_and_cache_ds_mla_kernelI14__hip_bfloat16hLNS_18Fp8KVCacheDataTypeE1EEEvPKT_S5_PT0_PKliiiiiiiPKf,@function
_ZN4vllm30concat_and_cache_ds_mla_kernelI14__hip_bfloat16hLNS_18Fp8KVCacheDataTypeE1EEEvPKT_S5_PT0_PKliiiiiiiPKf: ; @_ZN4vllm30concat_and_cache_ds_mla_kernelI14__hip_bfloat16hLNS_18Fp8KVCacheDataTypeE1EEEvPKT_S5_PT0_PKliiiiiiiPKf
; %bb.0:
	s_load_dwordx2 s[4:5], s[0:1], 0x18
	s_mov_b32 s3, 0
	s_lshl_b64 s[6:7], s[2:3], 3
	s_waitcnt lgkmcnt(0)
	s_add_u32 s4, s4, s6
	s_addc_u32 s5, s5, s7
	s_load_dwordx2 s[10:11], s[4:5], 0x0
	s_waitcnt lgkmcnt(0)
	v_cmp_lt_i64_e64 s[4:5], s[10:11], 0
	s_and_b64 vcc, exec, s[4:5]
	s_cbranch_vccnz .LBB18_10
; %bb.1:
	s_load_dword s12, s[0:1], 0x38
	s_load_dwordx2 s[8:9], s[0:1], 0x10
	s_waitcnt lgkmcnt(0)
	s_ashr_i32 s13, s12, 31
	s_or_b64 s[4:5], s[10:11], s[12:13]
	s_mov_b32 s4, s3
	s_cmp_lg_u64 s[4:5], 0
	s_cbranch_scc0 .LBB18_11
; %bb.2:
	s_add_u32 s4, s12, s13
	s_mov_b32 s14, s13
	s_mov_b32 s15, s13
	s_addc_u32 s5, s13, s13
	s_xor_b64 s[16:17], s[4:5], s[14:15]
	v_cvt_f32_u32_e32 v1, s16
	v_cvt_f32_u32_e32 v2, s17
	s_sub_u32 s3, 0, s16
	s_subb_u32 s4, 0, s17
	v_fmamk_f32 v1, v2, 0x4f800000, v1
	v_rcp_f32_e32 v1, v1
	s_nop 0
	v_mul_f32_e32 v1, 0x5f7ffffc, v1
	v_mul_f32_e32 v2, 0x2f800000, v1
	v_trunc_f32_e32 v2, v2
	v_fmamk_f32 v1, v2, 0xcf800000, v1
	v_cvt_u32_f32_e32 v2, v2
	v_cvt_u32_f32_e32 v1, v1
	v_readfirstlane_b32 s5, v2
	v_readfirstlane_b32 s18, v1
	s_mul_i32 s19, s3, s5
	s_mul_hi_u32 s21, s3, s18
	s_mul_i32 s20, s4, s18
	s_add_i32 s19, s21, s19
	s_add_i32 s19, s19, s20
	s_mul_i32 s22, s3, s18
	s_mul_hi_u32 s20, s18, s19
	s_mul_i32 s21, s18, s19
	s_mul_hi_u32 s18, s18, s22
	s_add_u32 s18, s18, s21
	s_addc_u32 s20, 0, s20
	s_mul_hi_u32 s23, s5, s22
	s_mul_i32 s22, s5, s22
	s_add_u32 s18, s18, s22
	s_mul_hi_u32 s21, s5, s19
	s_addc_u32 s18, s20, s23
	s_addc_u32 s20, s21, 0
	s_mul_i32 s19, s5, s19
	s_add_u32 s18, s18, s19
	s_addc_u32 s19, 0, s20
	v_add_co_u32_e32 v1, vcc, s18, v1
	s_cmp_lg_u64 vcc, 0
	s_addc_u32 s5, s5, s19
	v_readfirstlane_b32 s19, v1
	s_mul_i32 s18, s3, s5
	s_mul_hi_u32 s20, s3, s19
	s_add_i32 s18, s20, s18
	s_mul_i32 s4, s4, s19
	s_add_i32 s18, s18, s4
	s_mul_i32 s3, s3, s19
	s_mul_hi_u32 s20, s5, s3
	s_mul_i32 s21, s5, s3
	s_mul_i32 s23, s19, s18
	s_mul_hi_u32 s3, s19, s3
	s_mul_hi_u32 s22, s19, s18
	s_add_u32 s3, s3, s23
	s_addc_u32 s19, 0, s22
	s_add_u32 s3, s3, s21
	s_mul_hi_u32 s4, s5, s18
	s_addc_u32 s3, s19, s20
	s_addc_u32 s4, s4, 0
	s_mul_i32 s18, s5, s18
	s_add_u32 s3, s3, s18
	s_addc_u32 s4, 0, s4
	v_add_co_u32_e32 v1, vcc, s3, v1
	s_cmp_lg_u64 vcc, 0
	s_addc_u32 s3, s5, s4
	s_ashr_i32 s18, s11, 31
	s_add_u32 s4, s10, s18
	s_mov_b32 s19, s18
	s_addc_u32 s5, s11, s18
	s_xor_b64 s[20:21], s[4:5], s[18:19]
	v_readfirstlane_b32 s22, v1
	s_mul_i32 s5, s20, s3
	s_mul_hi_u32 s23, s20, s22
	s_mul_hi_u32 s4, s20, s3
	s_add_u32 s5, s23, s5
	s_addc_u32 s4, 0, s4
	s_mul_hi_u32 s24, s21, s22
	s_mul_i32 s22, s21, s22
	s_add_u32 s5, s5, s22
	s_mul_hi_u32 s23, s21, s3
	s_addc_u32 s4, s4, s24
	s_addc_u32 s5, s23, 0
	s_mul_i32 s3, s21, s3
	s_add_u32 s3, s4, s3
	s_addc_u32 s22, 0, s5
	s_mul_i32 s4, s16, s22
	s_mul_hi_u32 s5, s16, s3
	s_add_i32 s4, s5, s4
	s_mul_i32 s5, s17, s3
	s_add_i32 s23, s4, s5
	s_mul_i32 s5, s16, s3
	v_mov_b32_e32 v1, s5
	s_sub_i32 s4, s21, s23
	v_sub_co_u32_e32 v1, vcc, s20, v1
	s_cmp_lg_u64 vcc, 0
	s_subb_u32 s20, s4, s17
	v_subrev_co_u32_e64 v2, s[4:5], s16, v1
	s_cmp_lg_u64 s[4:5], 0
	s_subb_u32 s4, s20, 0
	s_cmp_ge_u32 s4, s17
	v_readfirstlane_b32 s20, v2
	s_cselect_b32 s5, -1, 0
	s_cmp_ge_u32 s20, s16
	s_cselect_b32 s20, -1, 0
	s_cmp_eq_u32 s4, s17
	s_cselect_b32 s4, s20, s5
	s_add_u32 s5, s3, 1
	s_addc_u32 s20, s22, 0
	s_add_u32 s24, s3, 2
	s_addc_u32 s25, s22, 0
	s_cmp_lg_u32 s4, 0
	s_cselect_b32 s4, s24, s5
	s_cselect_b32 s5, s25, s20
	s_cmp_lg_u64 vcc, 0
	s_subb_u32 s20, s21, s23
	s_cmp_ge_u32 s20, s17
	v_readfirstlane_b32 s23, v1
	s_cselect_b32 s21, -1, 0
	s_cmp_ge_u32 s23, s16
	s_cselect_b32 s16, -1, 0
	s_cmp_eq_u32 s20, s17
	s_cselect_b32 s16, s16, s21
	s_cmp_lg_u32 s16, 0
	s_cselect_b32 s5, s5, s22
	s_cselect_b32 s4, s4, s3
	s_xor_b64 s[14:15], s[18:19], s[14:15]
	s_xor_b64 s[4:5], s[4:5], s[14:15]
	s_sub_u32 s14, s4, s14
	s_subb_u32 s15, s5, s15
	s_cbranch_execnz .LBB18_4
.LBB18_3:
	v_cvt_f32_u32_e32 v1, s12
	s_sub_i32 s3, 0, s12
	s_mov_b32 s15, 0
	v_rcp_iflag_f32_e32 v1, v1
	s_nop 0
	v_mul_f32_e32 v1, 0x4f7ffffe, v1
	v_cvt_u32_f32_e32 v1, v1
	s_nop 0
	v_readfirstlane_b32 s4, v1
	s_mul_i32 s3, s3, s4
	s_mul_hi_u32 s3, s4, s3
	s_add_i32 s4, s4, s3
	s_mul_hi_u32 s3, s10, s4
	s_mul_i32 s5, s3, s12
	s_sub_i32 s5, s10, s5
	s_add_i32 s4, s3, 1
	s_sub_i32 s6, s5, s12
	s_cmp_ge_u32 s5, s12
	s_cselect_b32 s3, s4, s3
	s_cselect_b32 s5, s6, s5
	s_add_i32 s4, s3, 1
	s_cmp_ge_u32 s5, s12
	s_cselect_b32 s14, s4, s3
.LBB18_4:
	s_load_dwordx4 s[4:7], s[0:1], 0x20
	s_load_dword s3, s[0:1], 0x30
	s_mul_i32 s13, s14, s13
	s_mul_hi_u32 s16, s14, s12
	s_add_i32 s13, s16, s13
	s_mul_i32 s16, s15, s12
	s_add_i32 s13, s13, s16
	s_mul_i32 s12, s14, s12
	s_sub_u32 s10, s10, s12
	s_subb_u32 s11, s11, s13
	s_waitcnt lgkmcnt(0)
	s_ashr_i32 s12, s4, 31
	s_mul_hi_u32 s13, s14, s4
	s_mul_i32 s12, s14, s12
	s_add_i32 s12, s13, s12
	s_mul_i32 s13, s15, s4
	s_add_i32 s12, s12, s13
	s_ashr_i32 s13, s5, 31
	s_mul_i32 s4, s14, s4
	s_mul_i32 s13, s10, s13
	s_mul_hi_u32 s14, s10, s5
	s_add_i32 s13, s14, s13
	s_mul_i32 s11, s11, s5
	s_add_i32 s13, s13, s11
	s_add_u32 s4, s8, s4
	s_mul_i32 s10, s10, s5
	s_addc_u32 s5, s9, s12
	s_add_u32 s4, s4, s10
	s_addc_u32 s5, s5, s13
	v_cmp_gt_u32_e32 vcc, 64, v0
	s_and_saveexec_b64 s[8:9], vcc
	s_xor_b64 s[8:9], exec, s[8:9]
	s_cbranch_execz .LBB18_8
; %bb.5:
	s_load_dwordx2 s[10:11], s[0:1], 0x0
	s_ashr_i32 s12, s6, 31
	s_mul_hi_u32 s13, s6, s2
	s_mul_i32 s12, s12, s2
	s_add_i32 s13, s13, s12
	s_mul_i32 s12, s6, s2
	s_lshl_b64 s[12:13], s[12:13], 1
	s_waitcnt lgkmcnt(0)
	s_add_u32 s10, s10, s12
	s_addc_u32 s11, s11, s13
	v_lshlrev_b32_e32 v1, 4, v0
	global_load_dwordx4 v[12:15], v1, s[10:11]
	v_mbcnt_lo_u32_b32 v1, -1, 0
	v_mbcnt_hi_u32_b32 v2, -1, v1
	v_and_b32_e32 v1, 0x70, v2
	v_xor_b32_e32 v3, 8, v2
	v_add_u32_e32 v7, 16, v1
	v_cmp_lt_i32_e32 vcc, v3, v7
	s_mov_b32 s6, 0x43600000
	s_waitcnt vmcnt(0)
	v_lshlrev_b32_e32 v11, 16, v12
	v_cndmask_b32_e32 v1, v2, v3, vcc
	v_lshlrev_b32_e32 v3, 2, v1
	v_and_b32_e32 v10, 0xffff0000, v12
	v_lshlrev_b32_e32 v9, 16, v13
	v_and_b32_e32 v8, 0xffff0000, v13
	;; [unrolled: 2-line block ×4, first 2 shown]
	v_max_f32_e64 v12, |v10|, |v10|
	v_max_f32_e64 v13, |v11|, |v11|
	;; [unrolled: 1-line block ×6, first 2 shown]
	v_max_f32_e32 v12, v13, v12
	v_max_f32_e32 v13, v15, v14
	;; [unrolled: 1-line block ×3, first 2 shown]
	v_max3_f32 v14, |v6|, |v5|, v14
	v_max3_f32 v12, v12, v13, v14
	ds_bpermute_b32 v3, v3, v12
	v_xor_b32_e32 v13, 4, v2
	v_cmp_lt_i32_e32 vcc, v13, v7
	v_and_b32_e32 v14, 15, v0
	s_waitcnt lgkmcnt(0)
	v_max_f32_e32 v3, v3, v3
	v_cndmask_b32_e32 v13, v2, v13, vcc
	v_lshlrev_b32_e32 v13, 2, v13
	v_max_f32_e32 v3, v12, v3
	ds_bpermute_b32 v12, v13, v3
	v_xor_b32_e32 v13, 2, v2
	v_cmp_lt_i32_e32 vcc, v13, v7
	s_waitcnt lgkmcnt(0)
	v_max_f32_e32 v12, v12, v12
	v_cndmask_b32_e32 v13, v2, v13, vcc
	v_lshlrev_b32_e32 v13, 2, v13
	v_max_f32_e32 v3, v3, v12
	ds_bpermute_b32 v12, v13, v3
	v_xor_b32_e32 v13, 1, v2
	v_cmp_lt_i32_e32 vcc, v13, v7
	s_waitcnt lgkmcnt(0)
	v_max_f32_e32 v7, v12, v12
	v_cndmask_b32_e32 v2, v2, v13, vcc
	v_lshlrev_b32_e32 v2, 2, v2
	v_max_f32_e32 v7, v3, v7
	ds_bpermute_b32 v12, v2, v7
	v_lshlrev_b32_e32 v2, 3, v0
	v_mov_b32_e32 v3, 0
	s_waitcnt lgkmcnt(0)
	v_max_f32_e32 v12, v12, v12
	v_max_f32_e32 v7, v7, v12
	v_div_scale_f32 v12, s[10:11], s6, s6, v7
	v_rcp_f32_e32 v13, v12
	v_div_scale_f32 v15, vcc, v7, s6, v7
	v_fma_f32 v16, -v12, v13, 1.0
	v_fmac_f32_e32 v13, v16, v13
	v_mul_f32_e32 v16, v15, v13
	v_fma_f32 v17, -v12, v16, v15
	v_fmac_f32_e32 v16, v17, v13
	v_fma_f32 v12, -v12, v16, v15
	v_div_fmas_f32 v12, v12, v13, v16
	v_div_fixup_f32 v7, v12, s6, v7
	v_max_f32_e32 v7, 0x800000, v7
	v_cmp_eq_u32_e32 vcc, 0, v14
	s_and_saveexec_b64 s[10:11], vcc
	s_cbranch_execz .LBB18_7
; %bb.6:
	s_ashr_i32 s6, s3, 31
	s_lshr_b32 s6, s6, 30
	s_add_i32 s6, s3, s6
	v_lshrrev_b32_e32 v0, 4, v0
	s_ashr_i32 s6, s6, 2
	v_add_u32_e32 v12, s6, v0
	v_ashrrev_i32_e32 v13, 31, v12
	v_lshl_add_u64 v[12:13], v[12:13], 2, s[4:5]
	global_store_dword v[12:13], v7, off
.LBB18_7:
	s_or_b64 exec, exec, s[10:11]
	v_div_scale_f32 v0, s[10:11], v7, v7, v11
	v_rcp_f32_e32 v12, v0
	v_div_scale_f32 v13, vcc, v11, v7, v11
	s_mov_b32 s6, 0x7f800000
	v_fma_f32 v14, -v0, v12, 1.0
	v_fmac_f32_e32 v12, v14, v12
	v_mul_f32_e32 v14, v13, v12
	v_fma_f32 v15, -v0, v14, v13
	v_fmac_f32_e32 v14, v15, v12
	v_fma_f32 v0, -v0, v14, v13
	v_div_scale_f32 v13, s[10:11], v7, v7, v10
	v_div_fmas_f32 v0, v0, v12, v14
	v_rcp_f32_e32 v14, v13
	v_div_fixup_f32 v0, v0, v7, v11
	s_mov_b32 s12, 0x43700000
	v_mov_b32_e32 v11, 0xc3700000
	v_med3_f32 v12, v0, s12, v11
	v_cmp_nlg_f32_e64 vcc, |v0|, s6
	s_nop 1
	v_cndmask_b32_e32 v0, v12, v0, vcc
	v_mov_b32_e32 v12, v3
	v_cvt_pk_fp8_f32 v12, v0, v0
	v_fma_f32 v0, -v13, v14, 1.0
	v_fmac_f32_e32 v14, v0, v14
	v_div_scale_f32 v0, vcc, v10, v7, v10
	v_mul_f32_e32 v15, v0, v14
	v_fma_f32 v16, -v13, v15, v0
	v_fmac_f32_e32 v15, v16, v14
	v_fma_f32 v0, -v13, v15, v0
	v_div_scale_f32 v13, s[10:11], v7, v7, v9
	v_div_fmas_f32 v0, v0, v14, v15
	v_rcp_f32_e32 v14, v13
	v_div_fixup_f32 v0, v0, v7, v10
	v_med3_f32 v10, v0, s12, v11
	v_cmp_nlg_f32_e64 vcc, |v0|, s6
	s_nop 1
	v_cndmask_b32_e32 v0, v10, v0, vcc
	v_mov_b32_e32 v10, v3
	v_cvt_pk_fp8_f32 v10, v0, v0
	v_fma_f32 v0, -v13, v14, 1.0
	v_fmac_f32_e32 v14, v0, v14
	v_div_scale_f32 v0, vcc, v9, v7, v9
	v_mul_f32_e32 v15, v0, v14
	v_fma_f32 v16, -v13, v15, v0
	v_fmac_f32_e32 v15, v16, v14
	v_fma_f32 v0, -v13, v15, v0
	v_div_scale_f32 v13, s[10:11], v7, v7, v8
	v_div_fmas_f32 v0, v0, v14, v15
	v_rcp_f32_e32 v14, v13
	v_div_fixup_f32 v0, v0, v7, v9
	;; [unrolled: 17-line block ×6, first 2 shown]
	v_med3_f32 v4, v0, s12, v11
	v_cmp_nlg_f32_e64 vcc, |v0|, s6
	v_fma_f32 v15, -v13, v14, 1.0
	v_fmac_f32_e32 v14, v15, v14
	v_cndmask_b32_e32 v0, v4, v0, vcc
	v_div_scale_f32 v15, vcc, v1, v7, v1
	v_mul_f32_e32 v16, v15, v14
	v_fma_f32 v17, -v13, v16, v15
	v_fmac_f32_e32 v16, v17, v14
	v_fma_f32 v13, -v13, v16, v15
	v_div_fmas_f32 v13, v13, v14, v16
	v_div_fixup_f32 v1, v13, v7, v1
	v_med3_f32 v7, v1, s12, v11
	v_cmp_nlg_f32_e64 vcc, |v1|, s6
	v_mov_b32_e32 v4, v3
	v_cvt_pk_fp8_f32 v4, v0, v0
	v_cndmask_b32_e32 v1, v7, v1, vcc
	v_mov_b32_e32 v7, v3
	v_cvt_pk_fp8_f32 v7, v1, v1
	v_lshlrev_b16_e32 v0, 8, v5
	v_or_b32_sdwa v0, v6, v0 dst_sel:DWORD dst_unused:UNUSED_PAD src0_sel:BYTE_0 src1_sel:DWORD
	v_lshl_add_u64 v[2:3], s[4:5], 0, v[2:3]
	v_lshlrev_b16_e32 v1, 8, v7
	v_or_b32_sdwa v1, v4, v1 dst_sel:WORD_1 dst_unused:UNUSED_PAD src0_sel:BYTE_0 src1_sel:DWORD
	v_lshlrev_b16_e32 v4, 8, v8
	v_or_b32_sdwa v1, v0, v1 dst_sel:DWORD dst_unused:UNUSED_PAD src0_sel:WORD_0 src1_sel:DWORD
	v_lshlrev_b16_e32 v0, 8, v10
	v_or_b32_sdwa v0, v12, v0 dst_sel:DWORD dst_unused:UNUSED_PAD src0_sel:BYTE_0 src1_sel:DWORD
	v_or_b32_sdwa v4, v9, v4 dst_sel:WORD_1 dst_unused:UNUSED_PAD src0_sel:BYTE_0 src1_sel:DWORD
	s_nop 0
	v_or_b32_sdwa v0, v0, v4 dst_sel:DWORD dst_unused:UNUSED_PAD src0_sel:WORD_0 src1_sel:DWORD
	global_store_dwordx2 v[2:3], v[0:1], off
                                        ; implicit-def: $vgpr0
.LBB18_8:
	s_andn2_saveexec_b64 s[8:9], s[8:9]
	s_cbranch_execz .LBB18_10
; %bb.9:
	s_load_dwordx2 s[0:1], s[0:1], 0x8
	s_ashr_i32 s6, s7, 31
	s_mul_hi_u32 s8, s7, s2
	s_mul_i32 s6, s6, s2
	v_lshlrev_b16_e32 v0, 1, v0
	s_add_i32 s9, s8, s6
	s_mul_i32 s8, s7, s2
	v_xor_b32_e32 v0, 0x80, v0
	s_lshl_b64 s[6:7], s[8:9], 1
	v_bfe_i32 v0, v0, 0, 8
	s_waitcnt lgkmcnt(0)
	s_add_u32 s0, s0, s6
	v_ashrrev_i32_e32 v1, 31, v0
	s_addc_u32 s1, s1, s7
	v_lshl_add_u64 v[2:3], v[0:1], 1, s[0:1]
	global_load_dword v2, v[2:3], off
	s_lshr_b32 s0, s3, 31
	s_add_i32 s3, s3, s0
	s_ashr_i32 s0, s3, 1
	s_ashr_i32 s1, s0, 31
	v_lshl_add_u64 v[0:1], v[0:1], 0, s[0:1]
	v_lshl_add_u64 v[0:1], v[0:1], 1, s[4:5]
	s_waitcnt vmcnt(0)
	global_store_dword v[0:1], v2, off offset:16
.LBB18_10:
	s_endpgm
.LBB18_11:
                                        ; implicit-def: $sgpr14_sgpr15
	s_branch .LBB18_3
	.section	.rodata,"a",@progbits
	.p2align	6, 0x0
	.amdhsa_kernel _ZN4vllm30concat_and_cache_ds_mla_kernelI14__hip_bfloat16hLNS_18Fp8KVCacheDataTypeE1EEEvPKT_S5_PT0_PKliiiiiiiPKf
		.amdhsa_group_segment_fixed_size 0
		.amdhsa_private_segment_fixed_size 0
		.amdhsa_kernarg_size 72
		.amdhsa_user_sgpr_count 2
		.amdhsa_user_sgpr_dispatch_ptr 0
		.amdhsa_user_sgpr_queue_ptr 0
		.amdhsa_user_sgpr_kernarg_segment_ptr 1
		.amdhsa_user_sgpr_dispatch_id 0
		.amdhsa_user_sgpr_kernarg_preload_length 0
		.amdhsa_user_sgpr_kernarg_preload_offset 0
		.amdhsa_user_sgpr_private_segment_size 0
		.amdhsa_uses_dynamic_stack 0
		.amdhsa_enable_private_segment 0
		.amdhsa_system_sgpr_workgroup_id_x 1
		.amdhsa_system_sgpr_workgroup_id_y 0
		.amdhsa_system_sgpr_workgroup_id_z 0
		.amdhsa_system_sgpr_workgroup_info 0
		.amdhsa_system_vgpr_workitem_id 0
		.amdhsa_next_free_vgpr 18
		.amdhsa_next_free_sgpr 26
		.amdhsa_accum_offset 20
		.amdhsa_reserve_vcc 1
		.amdhsa_float_round_mode_32 0
		.amdhsa_float_round_mode_16_64 0
		.amdhsa_float_denorm_mode_32 3
		.amdhsa_float_denorm_mode_16_64 3
		.amdhsa_dx10_clamp 1
		.amdhsa_ieee_mode 1
		.amdhsa_fp16_overflow 0
		.amdhsa_tg_split 0
		.amdhsa_exception_fp_ieee_invalid_op 0
		.amdhsa_exception_fp_denorm_src 0
		.amdhsa_exception_fp_ieee_div_zero 0
		.amdhsa_exception_fp_ieee_overflow 0
		.amdhsa_exception_fp_ieee_underflow 0
		.amdhsa_exception_fp_ieee_inexact 0
		.amdhsa_exception_int_div_zero 0
	.end_amdhsa_kernel
	.section	.text._ZN4vllm30concat_and_cache_ds_mla_kernelI14__hip_bfloat16hLNS_18Fp8KVCacheDataTypeE1EEEvPKT_S5_PT0_PKliiiiiiiPKf,"axG",@progbits,_ZN4vllm30concat_and_cache_ds_mla_kernelI14__hip_bfloat16hLNS_18Fp8KVCacheDataTypeE1EEEvPKT_S5_PT0_PKliiiiiiiPKf,comdat
.Lfunc_end18:
	.size	_ZN4vllm30concat_and_cache_ds_mla_kernelI14__hip_bfloat16hLNS_18Fp8KVCacheDataTypeE1EEEvPKT_S5_PT0_PKliiiiiiiPKf, .Lfunc_end18-_ZN4vllm30concat_and_cache_ds_mla_kernelI14__hip_bfloat16hLNS_18Fp8KVCacheDataTypeE1EEEvPKT_S5_PT0_PKliiiiiiiPKf
                                        ; -- End function
	.section	.AMDGPU.csdata,"",@progbits
; Kernel info:
; codeLenInByte = 2504
; NumSgprs: 32
; NumVgprs: 18
; NumAgprs: 0
; TotalNumVgprs: 18
; ScratchSize: 0
; MemoryBound: 0
; FloatMode: 240
; IeeeMode: 1
; LDSByteSize: 0 bytes/workgroup (compile time only)
; SGPRBlocks: 3
; VGPRBlocks: 2
; NumSGPRsForWavesPerEU: 32
; NumVGPRsForWavesPerEU: 18
; AccumOffset: 20
; Occupancy: 8
; WaveLimiterHint : 0
; COMPUTE_PGM_RSRC2:SCRATCH_EN: 0
; COMPUTE_PGM_RSRC2:USER_SGPR: 2
; COMPUTE_PGM_RSRC2:TRAP_HANDLER: 0
; COMPUTE_PGM_RSRC2:TGID_X_EN: 1
; COMPUTE_PGM_RSRC2:TGID_Y_EN: 0
; COMPUTE_PGM_RSRC2:TGID_Z_EN: 0
; COMPUTE_PGM_RSRC2:TIDIG_COMP_CNT: 0
; COMPUTE_PGM_RSRC3_GFX90A:ACCUM_OFFSET: 4
; COMPUTE_PGM_RSRC3_GFX90A:TG_SPLIT: 0
	.section	.text._ZN4vllm27concat_and_cache_mla_kernelIffLNS_18Fp8KVCacheDataTypeE0EEEvPKT_S4_PT0_PKliiiiiiiPKf,"axG",@progbits,_ZN4vllm27concat_and_cache_mla_kernelIffLNS_18Fp8KVCacheDataTypeE0EEEvPKT_S4_PT0_PKliiiiiiiPKf,comdat
	.protected	_ZN4vllm27concat_and_cache_mla_kernelIffLNS_18Fp8KVCacheDataTypeE0EEEvPKT_S4_PT0_PKliiiiiiiPKf ; -- Begin function _ZN4vllm27concat_and_cache_mla_kernelIffLNS_18Fp8KVCacheDataTypeE0EEEvPKT_S4_PT0_PKliiiiiiiPKf
	.globl	_ZN4vllm27concat_and_cache_mla_kernelIffLNS_18Fp8KVCacheDataTypeE0EEEvPKT_S4_PT0_PKliiiiiiiPKf
	.p2align	8
	.type	_ZN4vllm27concat_and_cache_mla_kernelIffLNS_18Fp8KVCacheDataTypeE0EEEvPKT_S4_PT0_PKliiiiiiiPKf,@function
_ZN4vllm27concat_and_cache_mla_kernelIffLNS_18Fp8KVCacheDataTypeE0EEEvPKT_S4_PT0_PKliiiiiiiPKf: ; @_ZN4vllm27concat_and_cache_mla_kernelIffLNS_18Fp8KVCacheDataTypeE0EEEvPKT_S4_PT0_PKliiiiiiiPKf
; %bb.0:
	s_load_dwordx2 s[4:5], s[0:1], 0x18
	s_mov_b32 s3, 0
	s_lshl_b64 s[6:7], s[2:3], 3
	s_waitcnt lgkmcnt(0)
	s_add_u32 s4, s4, s6
	s_addc_u32 s5, s5, s7
	s_load_dwordx2 s[6:7], s[4:5], 0x0
	s_waitcnt lgkmcnt(0)
	v_cmp_lt_i64_e64 s[4:5], s[6:7], 0
	s_and_b64 vcc, exec, s[4:5]
	s_cbranch_vccnz .LBB19_10
; %bb.1:
	s_load_dwordx8 s[8:15], s[0:1], 0x20
	s_waitcnt lgkmcnt(0)
	s_ashr_i32 s15, s14, 31
	s_or_b64 s[4:5], s[6:7], s[14:15]
	s_mov_b32 s4, s3
	s_cmp_lg_u64 s[4:5], 0
	s_cbranch_scc0 .LBB19_11
; %bb.2:
	s_add_u32 s4, s14, s15
	s_mov_b32 s16, s15
	s_mov_b32 s17, s15
	s_addc_u32 s5, s15, s15
	s_xor_b64 s[20:21], s[4:5], s[16:17]
	v_cvt_f32_u32_e32 v1, s20
	v_cvt_f32_u32_e32 v2, s21
	s_sub_u32 s3, 0, s20
	s_subb_u32 s4, 0, s21
	v_fmamk_f32 v1, v2, 0x4f800000, v1
	v_rcp_f32_e32 v1, v1
	s_nop 0
	v_mul_f32_e32 v1, 0x5f7ffffc, v1
	v_mul_f32_e32 v2, 0x2f800000, v1
	v_trunc_f32_e32 v2, v2
	v_fmamk_f32 v1, v2, 0xcf800000, v1
	v_cvt_u32_f32_e32 v2, v2
	v_cvt_u32_f32_e32 v1, v1
	v_readfirstlane_b32 s5, v2
	v_readfirstlane_b32 s22, v1
	s_mul_i32 s23, s3, s5
	s_mul_hi_u32 s25, s3, s22
	s_mul_i32 s24, s4, s22
	s_add_i32 s23, s25, s23
	s_add_i32 s23, s23, s24
	s_mul_i32 s26, s3, s22
	s_mul_hi_u32 s24, s22, s23
	s_mul_i32 s25, s22, s23
	s_mul_hi_u32 s22, s22, s26
	s_add_u32 s22, s22, s25
	s_addc_u32 s24, 0, s24
	s_mul_hi_u32 s27, s5, s26
	s_mul_i32 s26, s5, s26
	s_add_u32 s22, s22, s26
	s_mul_hi_u32 s25, s5, s23
	s_addc_u32 s22, s24, s27
	s_addc_u32 s24, s25, 0
	s_mul_i32 s23, s5, s23
	s_add_u32 s22, s22, s23
	s_addc_u32 s23, 0, s24
	v_add_co_u32_e32 v1, vcc, s22, v1
	s_cmp_lg_u64 vcc, 0
	s_addc_u32 s5, s5, s23
	v_readfirstlane_b32 s23, v1
	s_mul_i32 s22, s3, s5
	s_mul_hi_u32 s24, s3, s23
	s_add_i32 s22, s24, s22
	s_mul_i32 s4, s4, s23
	s_add_i32 s22, s22, s4
	s_mul_i32 s3, s3, s23
	s_mul_hi_u32 s24, s5, s3
	s_mul_i32 s25, s5, s3
	s_mul_i32 s27, s23, s22
	s_mul_hi_u32 s3, s23, s3
	s_mul_hi_u32 s26, s23, s22
	s_add_u32 s3, s3, s27
	s_addc_u32 s23, 0, s26
	s_add_u32 s3, s3, s25
	s_mul_hi_u32 s4, s5, s22
	s_addc_u32 s3, s23, s24
	s_addc_u32 s4, s4, 0
	s_mul_i32 s22, s5, s22
	s_add_u32 s3, s3, s22
	s_addc_u32 s4, 0, s4
	v_add_co_u32_e32 v1, vcc, s3, v1
	s_cmp_lg_u64 vcc, 0
	s_addc_u32 s3, s5, s4
	s_ashr_i32 s22, s7, 31
	s_add_u32 s4, s6, s22
	s_mov_b32 s23, s22
	s_addc_u32 s5, s7, s22
	s_xor_b64 s[24:25], s[4:5], s[22:23]
	v_readfirstlane_b32 s26, v1
	s_mul_i32 s5, s24, s3
	s_mul_hi_u32 s27, s24, s26
	s_mul_hi_u32 s4, s24, s3
	s_add_u32 s5, s27, s5
	s_addc_u32 s4, 0, s4
	s_mul_hi_u32 s28, s25, s26
	s_mul_i32 s26, s25, s26
	s_add_u32 s5, s5, s26
	s_mul_hi_u32 s27, s25, s3
	s_addc_u32 s4, s4, s28
	s_addc_u32 s5, s27, 0
	s_mul_i32 s3, s25, s3
	s_add_u32 s3, s4, s3
	s_addc_u32 s26, 0, s5
	s_mul_i32 s4, s20, s26
	s_mul_hi_u32 s5, s20, s3
	s_add_i32 s4, s5, s4
	s_mul_i32 s5, s21, s3
	s_add_i32 s27, s4, s5
	s_mul_i32 s5, s20, s3
	v_mov_b32_e32 v1, s5
	s_sub_i32 s4, s25, s27
	v_sub_co_u32_e32 v1, vcc, s24, v1
	s_cmp_lg_u64 vcc, 0
	s_subb_u32 s24, s4, s21
	v_subrev_co_u32_e64 v2, s[4:5], s20, v1
	s_cmp_lg_u64 s[4:5], 0
	s_subb_u32 s4, s24, 0
	s_cmp_ge_u32 s4, s21
	v_readfirstlane_b32 s24, v2
	s_cselect_b32 s5, -1, 0
	s_cmp_ge_u32 s24, s20
	s_cselect_b32 s24, -1, 0
	s_cmp_eq_u32 s4, s21
	s_cselect_b32 s4, s24, s5
	s_add_u32 s5, s3, 1
	s_addc_u32 s24, s26, 0
	s_add_u32 s28, s3, 2
	s_addc_u32 s29, s26, 0
	s_cmp_lg_u32 s4, 0
	s_cselect_b32 s4, s28, s5
	s_cselect_b32 s5, s29, s24
	s_cmp_lg_u64 vcc, 0
	s_subb_u32 s24, s25, s27
	s_cmp_ge_u32 s24, s21
	v_readfirstlane_b32 s27, v1
	s_cselect_b32 s25, -1, 0
	s_cmp_ge_u32 s27, s20
	s_cselect_b32 s20, -1, 0
	s_cmp_eq_u32 s24, s21
	s_cselect_b32 s20, s20, s25
	s_cmp_lg_u32 s20, 0
	s_cselect_b32 s5, s5, s26
	s_cselect_b32 s4, s4, s3
	s_xor_b64 s[16:17], s[22:23], s[16:17]
	s_xor_b64 s[4:5], s[4:5], s[16:17]
	s_sub_u32 s16, s4, s16
	s_subb_u32 s17, s5, s17
	s_load_dwordx2 s[4:5], s[0:1], 0x10
	s_cbranch_execnz .LBB19_4
.LBB19_3:
	v_cvt_f32_u32_e32 v1, s14
	s_sub_i32 s3, 0, s14
	s_mov_b32 s17, 0
	v_rcp_iflag_f32_e32 v1, v1
	s_nop 0
	v_mul_f32_e32 v1, 0x4f7ffffe, v1
	v_cvt_u32_f32_e32 v1, v1
	s_nop 0
	v_readfirstlane_b32 s16, v1
	s_mul_i32 s3, s3, s16
	s_mul_hi_u32 s3, s16, s3
	s_add_i32 s16, s16, s3
	s_mul_hi_u32 s3, s6, s16
	s_mul_i32 s18, s3, s14
	s_sub_i32 s18, s6, s18
	s_add_i32 s16, s3, 1
	s_sub_i32 s19, s18, s14
	s_cmp_ge_u32 s18, s14
	s_cselect_b32 s3, s16, s3
	s_cselect_b32 s18, s19, s18
	s_add_i32 s16, s3, 1
	s_cmp_ge_u32 s18, s14
	s_cselect_b32 s16, s16, s3
.LBB19_4:
	s_mul_i32 s3, s16, s15
	s_mul_hi_u32 s15, s16, s14
	s_load_dwordx2 s[18:19], s[0:1], 0x8
	s_add_i32 s3, s15, s3
	s_mul_i32 s15, s17, s14
	s_add_i32 s15, s3, s15
	s_mul_i32 s3, s16, s14
	s_sub_u32 s3, s6, s3
	s_subb_u32 s28, s7, s15
	v_cmp_gt_i32_e32 vcc, s12, v0
	s_mul_hi_u32 s29, s16, s8
	s_mul_i32 s30, s17, s8
	s_mul_i32 s6, s16, s8
	s_mul_hi_u32 s17, s3, s9
	s_mul_i32 s28, s28, s9
	s_mul_i32 s14, s3, s9
	s_and_saveexec_b64 s[20:21], vcc
	s_cbranch_execz .LBB19_7
; %bb.5:
	s_ashr_i32 s7, s10, 31
	s_mul_hi_u32 s15, s10, s2
	s_mul_i32 s7, s7, s2
	s_load_dwordx2 s[24:25], s[0:1], 0x0
	s_add_i32 s23, s15, s7
	s_mul_i32 s22, s10, s2
	s_ashr_i32 s7, s8, 31
	s_ashr_i32 s10, s9, 31
	s_mul_i32 s7, s16, s7
	s_mul_i32 s10, s3, s10
	s_add_i32 s7, s29, s7
	s_add_i32 s10, s17, s10
	;; [unrolled: 1-line block ×4, first 2 shown]
	s_load_dword s10, s[0:1], 0x54
	s_lshl_b64 s[22:23], s[22:23], 2
	s_waitcnt lgkmcnt(0)
	s_add_u32 s22, s24, s22
	s_addc_u32 s23, s25, s23
	s_lshl_b64 s[24:25], s[6:7], 2
	s_add_u32 s7, s4, s24
	s_addc_u32 s26, s5, s25
	s_lshl_b64 s[24:25], s[14:15], 2
	s_add_u32 s24, s7, s24
	s_addc_u32 s25, s26, s25
	s_and_b32 s7, s10, 0xffff
	s_mov_b64 s[26:27], 0
	v_mov_b32_e32 v2, v0
.LBB19_6:                               ; =>This Inner Loop Header: Depth=1
	v_ashrrev_i32_e32 v3, 31, v2
	v_lshlrev_b64 v[4:5], 2, v[2:3]
	v_lshl_add_u64 v[6:7], s[22:23], 0, v[4:5]
	global_load_dword v1, v[6:7], off
	v_add_u32_e32 v2, s7, v2
	v_cmp_le_i32_e32 vcc, s12, v2
	v_lshl_add_u64 v[4:5], s[24:25], 0, v[4:5]
	s_or_b64 s[26:27], vcc, s[26:27]
	s_waitcnt vmcnt(0)
	global_store_dword v[4:5], v1, off
	s_andn2_b64 exec, exec, s[26:27]
	s_cbranch_execnz .LBB19_6
.LBB19_7:
	s_or_b64 exec, exec, s[20:21]
	v_cmp_gt_i32_e32 vcc, s13, v0
	s_and_saveexec_b64 s[20:21], vcc
	s_cbranch_execz .LBB19_10
; %bb.8:
	s_ashr_i32 s7, s11, 31
	s_mul_hi_u32 s10, s11, s2
	s_mul_i32 s7, s7, s2
	s_mul_i32 s20, s11, s2
	s_ashr_i32 s2, s8, 31
	s_mul_i32 s2, s16, s2
	s_add_i32 s2, s29, s2
	s_add_i32 s21, s10, s7
	s_add_i32 s7, s2, s30
	s_ashr_i32 s2, s9, 31
	s_mul_i32 s3, s3, s2
	s_add_i32 s2, s17, s3
	s_add_i32 s15, s2, s28
	s_ashr_i32 s9, s12, 31
	s_lshl_b64 s[2:3], s[20:21], 2
	s_waitcnt lgkmcnt(0)
	s_add_u32 s2, s18, s2
	s_addc_u32 s3, s19, s3
	s_lshl_b64 s[6:7], s[6:7], 2
	s_add_u32 s6, s4, s6
	s_addc_u32 s7, s5, s7
	s_lshl_b64 s[4:5], s[14:15], 2
	s_add_u32 s4, s6, s4
	s_load_dword s6, s[0:1], 0x54
	s_mov_b32 s8, s12
	s_addc_u32 s5, s7, s5
	s_lshl_b64 s[0:1], s[8:9], 2
	s_add_u32 s0, s4, s0
	s_addc_u32 s1, s5, s1
	s_waitcnt lgkmcnt(0)
	s_and_b32 s6, s6, 0xffff
	s_mov_b64 s[4:5], 0
.LBB19_9:                               ; =>This Inner Loop Header: Depth=1
	v_ashrrev_i32_e32 v1, 31, v0
	v_lshlrev_b64 v[2:3], 2, v[0:1]
	v_lshl_add_u64 v[4:5], s[2:3], 0, v[2:3]
	global_load_dword v1, v[4:5], off
	v_add_u32_e32 v0, s6, v0
	v_cmp_le_i32_e32 vcc, s13, v0
	v_lshl_add_u64 v[2:3], s[0:1], 0, v[2:3]
	s_or_b64 s[4:5], vcc, s[4:5]
	s_waitcnt vmcnt(0)
	global_store_dword v[2:3], v1, off
	s_andn2_b64 exec, exec, s[4:5]
	s_cbranch_execnz .LBB19_9
.LBB19_10:
	s_endpgm
.LBB19_11:
                                        ; implicit-def: $sgpr16_sgpr17
	s_load_dwordx2 s[4:5], s[0:1], 0x10
	s_branch .LBB19_3
	.section	.rodata,"a",@progbits
	.p2align	6, 0x0
	.amdhsa_kernel _ZN4vllm27concat_and_cache_mla_kernelIffLNS_18Fp8KVCacheDataTypeE0EEEvPKT_S4_PT0_PKliiiiiiiPKf
		.amdhsa_group_segment_fixed_size 0
		.amdhsa_private_segment_fixed_size 0
		.amdhsa_kernarg_size 328
		.amdhsa_user_sgpr_count 2
		.amdhsa_user_sgpr_dispatch_ptr 0
		.amdhsa_user_sgpr_queue_ptr 0
		.amdhsa_user_sgpr_kernarg_segment_ptr 1
		.amdhsa_user_sgpr_dispatch_id 0
		.amdhsa_user_sgpr_kernarg_preload_length 0
		.amdhsa_user_sgpr_kernarg_preload_offset 0
		.amdhsa_user_sgpr_private_segment_size 0
		.amdhsa_uses_dynamic_stack 0
		.amdhsa_enable_private_segment 0
		.amdhsa_system_sgpr_workgroup_id_x 1
		.amdhsa_system_sgpr_workgroup_id_y 0
		.amdhsa_system_sgpr_workgroup_id_z 0
		.amdhsa_system_sgpr_workgroup_info 0
		.amdhsa_system_vgpr_workitem_id 0
		.amdhsa_next_free_vgpr 8
		.amdhsa_next_free_sgpr 31
		.amdhsa_accum_offset 8
		.amdhsa_reserve_vcc 1
		.amdhsa_float_round_mode_32 0
		.amdhsa_float_round_mode_16_64 0
		.amdhsa_float_denorm_mode_32 3
		.amdhsa_float_denorm_mode_16_64 3
		.amdhsa_dx10_clamp 1
		.amdhsa_ieee_mode 1
		.amdhsa_fp16_overflow 0
		.amdhsa_tg_split 0
		.amdhsa_exception_fp_ieee_invalid_op 0
		.amdhsa_exception_fp_denorm_src 0
		.amdhsa_exception_fp_ieee_div_zero 0
		.amdhsa_exception_fp_ieee_overflow 0
		.amdhsa_exception_fp_ieee_underflow 0
		.amdhsa_exception_fp_ieee_inexact 0
		.amdhsa_exception_int_div_zero 0
	.end_amdhsa_kernel
	.section	.text._ZN4vllm27concat_and_cache_mla_kernelIffLNS_18Fp8KVCacheDataTypeE0EEEvPKT_S4_PT0_PKliiiiiiiPKf,"axG",@progbits,_ZN4vllm27concat_and_cache_mla_kernelIffLNS_18Fp8KVCacheDataTypeE0EEEvPKT_S4_PT0_PKliiiiiiiPKf,comdat
.Lfunc_end19:
	.size	_ZN4vllm27concat_and_cache_mla_kernelIffLNS_18Fp8KVCacheDataTypeE0EEEvPKT_S4_PT0_PKliiiiiiiPKf, .Lfunc_end19-_ZN4vllm27concat_and_cache_mla_kernelIffLNS_18Fp8KVCacheDataTypeE0EEEvPKT_S4_PT0_PKliiiiiiiPKf
                                        ; -- End function
	.section	.AMDGPU.csdata,"",@progbits
; Kernel info:
; codeLenInByte = 1244
; NumSgprs: 37
; NumVgprs: 8
; NumAgprs: 0
; TotalNumVgprs: 8
; ScratchSize: 0
; MemoryBound: 0
; FloatMode: 240
; IeeeMode: 1
; LDSByteSize: 0 bytes/workgroup (compile time only)
; SGPRBlocks: 4
; VGPRBlocks: 0
; NumSGPRsForWavesPerEU: 37
; NumVGPRsForWavesPerEU: 8
; AccumOffset: 8
; Occupancy: 8
; WaveLimiterHint : 0
; COMPUTE_PGM_RSRC2:SCRATCH_EN: 0
; COMPUTE_PGM_RSRC2:USER_SGPR: 2
; COMPUTE_PGM_RSRC2:TRAP_HANDLER: 0
; COMPUTE_PGM_RSRC2:TGID_X_EN: 1
; COMPUTE_PGM_RSRC2:TGID_Y_EN: 0
; COMPUTE_PGM_RSRC2:TGID_Z_EN: 0
; COMPUTE_PGM_RSRC2:TIDIG_COMP_CNT: 0
; COMPUTE_PGM_RSRC3_GFX90A:ACCUM_OFFSET: 1
; COMPUTE_PGM_RSRC3_GFX90A:TG_SPLIT: 0
	.section	.text._ZN4vllm27concat_and_cache_mla_kernelIttLNS_18Fp8KVCacheDataTypeE0EEEvPKT_S4_PT0_PKliiiiiiiPKf,"axG",@progbits,_ZN4vllm27concat_and_cache_mla_kernelIttLNS_18Fp8KVCacheDataTypeE0EEEvPKT_S4_PT0_PKliiiiiiiPKf,comdat
	.protected	_ZN4vllm27concat_and_cache_mla_kernelIttLNS_18Fp8KVCacheDataTypeE0EEEvPKT_S4_PT0_PKliiiiiiiPKf ; -- Begin function _ZN4vllm27concat_and_cache_mla_kernelIttLNS_18Fp8KVCacheDataTypeE0EEEvPKT_S4_PT0_PKliiiiiiiPKf
	.globl	_ZN4vllm27concat_and_cache_mla_kernelIttLNS_18Fp8KVCacheDataTypeE0EEEvPKT_S4_PT0_PKliiiiiiiPKf
	.p2align	8
	.type	_ZN4vllm27concat_and_cache_mla_kernelIttLNS_18Fp8KVCacheDataTypeE0EEEvPKT_S4_PT0_PKliiiiiiiPKf,@function
_ZN4vllm27concat_and_cache_mla_kernelIttLNS_18Fp8KVCacheDataTypeE0EEEvPKT_S4_PT0_PKliiiiiiiPKf: ; @_ZN4vllm27concat_and_cache_mla_kernelIttLNS_18Fp8KVCacheDataTypeE0EEEvPKT_S4_PT0_PKliiiiiiiPKf
; %bb.0:
	s_load_dwordx2 s[4:5], s[0:1], 0x18
	s_mov_b32 s3, 0
	s_lshl_b64 s[6:7], s[2:3], 3
	s_waitcnt lgkmcnt(0)
	s_add_u32 s4, s4, s6
	s_addc_u32 s5, s5, s7
	s_load_dwordx2 s[6:7], s[4:5], 0x0
	s_waitcnt lgkmcnt(0)
	v_cmp_lt_i64_e64 s[4:5], s[6:7], 0
	s_and_b64 vcc, exec, s[4:5]
	s_cbranch_vccnz .LBB20_10
; %bb.1:
	s_load_dwordx8 s[8:15], s[0:1], 0x20
	s_waitcnt lgkmcnt(0)
	s_ashr_i32 s15, s14, 31
	s_or_b64 s[4:5], s[6:7], s[14:15]
	s_mov_b32 s4, s3
	s_cmp_lg_u64 s[4:5], 0
	s_cbranch_scc0 .LBB20_11
; %bb.2:
	s_add_u32 s4, s14, s15
	s_mov_b32 s16, s15
	s_mov_b32 s17, s15
	s_addc_u32 s5, s15, s15
	s_xor_b64 s[20:21], s[4:5], s[16:17]
	v_cvt_f32_u32_e32 v1, s20
	v_cvt_f32_u32_e32 v2, s21
	s_sub_u32 s3, 0, s20
	s_subb_u32 s4, 0, s21
	v_fmamk_f32 v1, v2, 0x4f800000, v1
	v_rcp_f32_e32 v1, v1
	s_nop 0
	v_mul_f32_e32 v1, 0x5f7ffffc, v1
	v_mul_f32_e32 v2, 0x2f800000, v1
	v_trunc_f32_e32 v2, v2
	v_fmamk_f32 v1, v2, 0xcf800000, v1
	v_cvt_u32_f32_e32 v2, v2
	v_cvt_u32_f32_e32 v1, v1
	v_readfirstlane_b32 s5, v2
	v_readfirstlane_b32 s22, v1
	s_mul_i32 s23, s3, s5
	s_mul_hi_u32 s25, s3, s22
	s_mul_i32 s24, s4, s22
	s_add_i32 s23, s25, s23
	s_add_i32 s23, s23, s24
	s_mul_i32 s26, s3, s22
	s_mul_hi_u32 s24, s22, s23
	s_mul_i32 s25, s22, s23
	s_mul_hi_u32 s22, s22, s26
	s_add_u32 s22, s22, s25
	s_addc_u32 s24, 0, s24
	s_mul_hi_u32 s27, s5, s26
	s_mul_i32 s26, s5, s26
	s_add_u32 s22, s22, s26
	s_mul_hi_u32 s25, s5, s23
	s_addc_u32 s22, s24, s27
	s_addc_u32 s24, s25, 0
	s_mul_i32 s23, s5, s23
	s_add_u32 s22, s22, s23
	s_addc_u32 s23, 0, s24
	v_add_co_u32_e32 v1, vcc, s22, v1
	s_cmp_lg_u64 vcc, 0
	s_addc_u32 s5, s5, s23
	v_readfirstlane_b32 s23, v1
	s_mul_i32 s22, s3, s5
	s_mul_hi_u32 s24, s3, s23
	s_add_i32 s22, s24, s22
	s_mul_i32 s4, s4, s23
	s_add_i32 s22, s22, s4
	s_mul_i32 s3, s3, s23
	s_mul_hi_u32 s24, s5, s3
	s_mul_i32 s25, s5, s3
	s_mul_i32 s27, s23, s22
	s_mul_hi_u32 s3, s23, s3
	s_mul_hi_u32 s26, s23, s22
	s_add_u32 s3, s3, s27
	s_addc_u32 s23, 0, s26
	s_add_u32 s3, s3, s25
	s_mul_hi_u32 s4, s5, s22
	s_addc_u32 s3, s23, s24
	s_addc_u32 s4, s4, 0
	s_mul_i32 s22, s5, s22
	s_add_u32 s3, s3, s22
	s_addc_u32 s4, 0, s4
	v_add_co_u32_e32 v1, vcc, s3, v1
	s_cmp_lg_u64 vcc, 0
	s_addc_u32 s3, s5, s4
	s_ashr_i32 s22, s7, 31
	s_add_u32 s4, s6, s22
	s_mov_b32 s23, s22
	s_addc_u32 s5, s7, s22
	s_xor_b64 s[24:25], s[4:5], s[22:23]
	v_readfirstlane_b32 s26, v1
	s_mul_i32 s5, s24, s3
	s_mul_hi_u32 s27, s24, s26
	s_mul_hi_u32 s4, s24, s3
	s_add_u32 s5, s27, s5
	s_addc_u32 s4, 0, s4
	s_mul_hi_u32 s28, s25, s26
	s_mul_i32 s26, s25, s26
	s_add_u32 s5, s5, s26
	s_mul_hi_u32 s27, s25, s3
	s_addc_u32 s4, s4, s28
	s_addc_u32 s5, s27, 0
	s_mul_i32 s3, s25, s3
	s_add_u32 s3, s4, s3
	s_addc_u32 s26, 0, s5
	s_mul_i32 s4, s20, s26
	s_mul_hi_u32 s5, s20, s3
	s_add_i32 s4, s5, s4
	s_mul_i32 s5, s21, s3
	s_add_i32 s27, s4, s5
	s_mul_i32 s5, s20, s3
	v_mov_b32_e32 v1, s5
	s_sub_i32 s4, s25, s27
	v_sub_co_u32_e32 v1, vcc, s24, v1
	s_cmp_lg_u64 vcc, 0
	s_subb_u32 s24, s4, s21
	v_subrev_co_u32_e64 v2, s[4:5], s20, v1
	s_cmp_lg_u64 s[4:5], 0
	s_subb_u32 s4, s24, 0
	s_cmp_ge_u32 s4, s21
	v_readfirstlane_b32 s24, v2
	s_cselect_b32 s5, -1, 0
	s_cmp_ge_u32 s24, s20
	s_cselect_b32 s24, -1, 0
	s_cmp_eq_u32 s4, s21
	s_cselect_b32 s4, s24, s5
	s_add_u32 s5, s3, 1
	s_addc_u32 s24, s26, 0
	s_add_u32 s28, s3, 2
	s_addc_u32 s29, s26, 0
	s_cmp_lg_u32 s4, 0
	s_cselect_b32 s4, s28, s5
	s_cselect_b32 s5, s29, s24
	s_cmp_lg_u64 vcc, 0
	s_subb_u32 s24, s25, s27
	s_cmp_ge_u32 s24, s21
	v_readfirstlane_b32 s27, v1
	s_cselect_b32 s25, -1, 0
	s_cmp_ge_u32 s27, s20
	s_cselect_b32 s20, -1, 0
	s_cmp_eq_u32 s24, s21
	s_cselect_b32 s20, s20, s25
	s_cmp_lg_u32 s20, 0
	s_cselect_b32 s5, s5, s26
	s_cselect_b32 s4, s4, s3
	s_xor_b64 s[16:17], s[22:23], s[16:17]
	s_xor_b64 s[4:5], s[4:5], s[16:17]
	s_sub_u32 s16, s4, s16
	s_subb_u32 s17, s5, s17
	s_load_dwordx2 s[4:5], s[0:1], 0x10
	s_cbranch_execnz .LBB20_4
.LBB20_3:
	v_cvt_f32_u32_e32 v1, s14
	s_sub_i32 s3, 0, s14
	s_mov_b32 s17, 0
	v_rcp_iflag_f32_e32 v1, v1
	s_nop 0
	v_mul_f32_e32 v1, 0x4f7ffffe, v1
	v_cvt_u32_f32_e32 v1, v1
	s_nop 0
	v_readfirstlane_b32 s16, v1
	s_mul_i32 s3, s3, s16
	s_mul_hi_u32 s3, s16, s3
	s_add_i32 s16, s16, s3
	s_mul_hi_u32 s3, s6, s16
	s_mul_i32 s18, s3, s14
	s_sub_i32 s18, s6, s18
	s_add_i32 s16, s3, 1
	s_sub_i32 s19, s18, s14
	s_cmp_ge_u32 s18, s14
	s_cselect_b32 s3, s16, s3
	s_cselect_b32 s18, s19, s18
	s_add_i32 s16, s3, 1
	s_cmp_ge_u32 s18, s14
	s_cselect_b32 s16, s16, s3
.LBB20_4:
	s_mul_i32 s3, s16, s15
	s_mul_hi_u32 s15, s16, s14
	s_load_dwordx2 s[18:19], s[0:1], 0x8
	s_add_i32 s3, s15, s3
	s_mul_i32 s15, s17, s14
	s_add_i32 s15, s3, s15
	s_mul_i32 s3, s16, s14
	s_sub_u32 s3, s6, s3
	s_subb_u32 s28, s7, s15
	v_cmp_gt_i32_e32 vcc, s12, v0
	s_mul_hi_u32 s29, s16, s8
	s_mul_i32 s30, s17, s8
	s_mul_i32 s6, s16, s8
	s_mul_hi_u32 s17, s3, s9
	s_mul_i32 s28, s28, s9
	s_mul_i32 s14, s3, s9
	s_and_saveexec_b64 s[20:21], vcc
	s_cbranch_execz .LBB20_7
; %bb.5:
	s_ashr_i32 s7, s10, 31
	s_mul_hi_u32 s15, s10, s2
	s_mul_i32 s7, s7, s2
	s_load_dwordx2 s[24:25], s[0:1], 0x0
	s_add_i32 s23, s15, s7
	s_mul_i32 s22, s10, s2
	s_ashr_i32 s7, s8, 31
	s_ashr_i32 s10, s9, 31
	s_mul_i32 s7, s16, s7
	s_mul_i32 s10, s3, s10
	s_add_i32 s7, s29, s7
	s_add_i32 s10, s17, s10
	;; [unrolled: 1-line block ×4, first 2 shown]
	s_load_dword s10, s[0:1], 0x54
	s_lshl_b64 s[22:23], s[22:23], 1
	s_waitcnt lgkmcnt(0)
	s_add_u32 s22, s24, s22
	s_addc_u32 s23, s25, s23
	s_lshl_b64 s[24:25], s[6:7], 1
	s_add_u32 s7, s4, s24
	s_addc_u32 s26, s5, s25
	s_lshl_b64 s[24:25], s[14:15], 1
	s_add_u32 s24, s7, s24
	s_addc_u32 s25, s26, s25
	s_and_b32 s7, s10, 0xffff
	s_mov_b64 s[26:27], 0
	v_mov_b32_e32 v2, v0
.LBB20_6:                               ; =>This Inner Loop Header: Depth=1
	v_ashrrev_i32_e32 v3, 31, v2
	v_lshlrev_b64 v[4:5], 1, v[2:3]
	v_lshl_add_u64 v[6:7], s[22:23], 0, v[4:5]
	global_load_ushort v1, v[6:7], off
	v_add_u32_e32 v2, s7, v2
	v_cmp_le_i32_e32 vcc, s12, v2
	v_lshl_add_u64 v[4:5], s[24:25], 0, v[4:5]
	s_or_b64 s[26:27], vcc, s[26:27]
	s_waitcnt vmcnt(0)
	global_store_short v[4:5], v1, off
	s_andn2_b64 exec, exec, s[26:27]
	s_cbranch_execnz .LBB20_6
.LBB20_7:
	s_or_b64 exec, exec, s[20:21]
	v_cmp_gt_i32_e32 vcc, s13, v0
	s_and_saveexec_b64 s[20:21], vcc
	s_cbranch_execz .LBB20_10
; %bb.8:
	s_ashr_i32 s7, s11, 31
	s_mul_hi_u32 s10, s11, s2
	s_mul_i32 s7, s7, s2
	s_mul_i32 s20, s11, s2
	s_ashr_i32 s2, s8, 31
	s_mul_i32 s2, s16, s2
	s_add_i32 s2, s29, s2
	s_add_i32 s21, s10, s7
	;; [unrolled: 1-line block ×3, first 2 shown]
	s_ashr_i32 s2, s9, 31
	s_mul_i32 s3, s3, s2
	s_add_i32 s2, s17, s3
	s_add_i32 s15, s2, s28
	s_ashr_i32 s9, s12, 31
	s_lshl_b64 s[2:3], s[20:21], 1
	s_waitcnt lgkmcnt(0)
	s_add_u32 s2, s18, s2
	s_addc_u32 s3, s19, s3
	s_lshl_b64 s[6:7], s[6:7], 1
	s_add_u32 s6, s4, s6
	s_addc_u32 s7, s5, s7
	s_lshl_b64 s[4:5], s[14:15], 1
	s_add_u32 s4, s6, s4
	s_load_dword s6, s[0:1], 0x54
	s_mov_b32 s8, s12
	s_addc_u32 s5, s7, s5
	s_lshl_b64 s[0:1], s[8:9], 1
	s_add_u32 s0, s4, s0
	s_addc_u32 s1, s5, s1
	s_waitcnt lgkmcnt(0)
	s_and_b32 s6, s6, 0xffff
	s_mov_b64 s[4:5], 0
.LBB20_9:                               ; =>This Inner Loop Header: Depth=1
	v_ashrrev_i32_e32 v1, 31, v0
	v_lshlrev_b64 v[2:3], 1, v[0:1]
	v_lshl_add_u64 v[4:5], s[2:3], 0, v[2:3]
	global_load_ushort v1, v[4:5], off
	v_add_u32_e32 v0, s6, v0
	v_cmp_le_i32_e32 vcc, s13, v0
	v_lshl_add_u64 v[2:3], s[0:1], 0, v[2:3]
	s_or_b64 s[4:5], vcc, s[4:5]
	s_waitcnt vmcnt(0)
	global_store_short v[2:3], v1, off
	s_andn2_b64 exec, exec, s[4:5]
	s_cbranch_execnz .LBB20_9
.LBB20_10:
	s_endpgm
.LBB20_11:
                                        ; implicit-def: $sgpr16_sgpr17
	s_load_dwordx2 s[4:5], s[0:1], 0x10
	s_branch .LBB20_3
	.section	.rodata,"a",@progbits
	.p2align	6, 0x0
	.amdhsa_kernel _ZN4vllm27concat_and_cache_mla_kernelIttLNS_18Fp8KVCacheDataTypeE0EEEvPKT_S4_PT0_PKliiiiiiiPKf
		.amdhsa_group_segment_fixed_size 0
		.amdhsa_private_segment_fixed_size 0
		.amdhsa_kernarg_size 328
		.amdhsa_user_sgpr_count 2
		.amdhsa_user_sgpr_dispatch_ptr 0
		.amdhsa_user_sgpr_queue_ptr 0
		.amdhsa_user_sgpr_kernarg_segment_ptr 1
		.amdhsa_user_sgpr_dispatch_id 0
		.amdhsa_user_sgpr_kernarg_preload_length 0
		.amdhsa_user_sgpr_kernarg_preload_offset 0
		.amdhsa_user_sgpr_private_segment_size 0
		.amdhsa_uses_dynamic_stack 0
		.amdhsa_enable_private_segment 0
		.amdhsa_system_sgpr_workgroup_id_x 1
		.amdhsa_system_sgpr_workgroup_id_y 0
		.amdhsa_system_sgpr_workgroup_id_z 0
		.amdhsa_system_sgpr_workgroup_info 0
		.amdhsa_system_vgpr_workitem_id 0
		.amdhsa_next_free_vgpr 8
		.amdhsa_next_free_sgpr 31
		.amdhsa_accum_offset 8
		.amdhsa_reserve_vcc 1
		.amdhsa_float_round_mode_32 0
		.amdhsa_float_round_mode_16_64 0
		.amdhsa_float_denorm_mode_32 3
		.amdhsa_float_denorm_mode_16_64 3
		.amdhsa_dx10_clamp 1
		.amdhsa_ieee_mode 1
		.amdhsa_fp16_overflow 0
		.amdhsa_tg_split 0
		.amdhsa_exception_fp_ieee_invalid_op 0
		.amdhsa_exception_fp_denorm_src 0
		.amdhsa_exception_fp_ieee_div_zero 0
		.amdhsa_exception_fp_ieee_overflow 0
		.amdhsa_exception_fp_ieee_underflow 0
		.amdhsa_exception_fp_ieee_inexact 0
		.amdhsa_exception_int_div_zero 0
	.end_amdhsa_kernel
	.section	.text._ZN4vllm27concat_and_cache_mla_kernelIttLNS_18Fp8KVCacheDataTypeE0EEEvPKT_S4_PT0_PKliiiiiiiPKf,"axG",@progbits,_ZN4vllm27concat_and_cache_mla_kernelIttLNS_18Fp8KVCacheDataTypeE0EEEvPKT_S4_PT0_PKliiiiiiiPKf,comdat
.Lfunc_end20:
	.size	_ZN4vllm27concat_and_cache_mla_kernelIttLNS_18Fp8KVCacheDataTypeE0EEEvPKT_S4_PT0_PKliiiiiiiPKf, .Lfunc_end20-_ZN4vllm27concat_and_cache_mla_kernelIttLNS_18Fp8KVCacheDataTypeE0EEEvPKT_S4_PT0_PKliiiiiiiPKf
                                        ; -- End function
	.section	.AMDGPU.csdata,"",@progbits
; Kernel info:
; codeLenInByte = 1244
; NumSgprs: 37
; NumVgprs: 8
; NumAgprs: 0
; TotalNumVgprs: 8
; ScratchSize: 0
; MemoryBound: 0
; FloatMode: 240
; IeeeMode: 1
; LDSByteSize: 0 bytes/workgroup (compile time only)
; SGPRBlocks: 4
; VGPRBlocks: 0
; NumSGPRsForWavesPerEU: 37
; NumVGPRsForWavesPerEU: 8
; AccumOffset: 8
; Occupancy: 8
; WaveLimiterHint : 0
; COMPUTE_PGM_RSRC2:SCRATCH_EN: 0
; COMPUTE_PGM_RSRC2:USER_SGPR: 2
; COMPUTE_PGM_RSRC2:TRAP_HANDLER: 0
; COMPUTE_PGM_RSRC2:TGID_X_EN: 1
; COMPUTE_PGM_RSRC2:TGID_Y_EN: 0
; COMPUTE_PGM_RSRC2:TGID_Z_EN: 0
; COMPUTE_PGM_RSRC2:TIDIG_COMP_CNT: 0
; COMPUTE_PGM_RSRC3_GFX90A:ACCUM_OFFSET: 1
; COMPUTE_PGM_RSRC3_GFX90A:TG_SPLIT: 0
	.section	.text._ZN4vllm27concat_and_cache_mla_kernelI14__hip_bfloat16S1_LNS_18Fp8KVCacheDataTypeE0EEEvPKT_S5_PT0_PKliiiiiiiPKf,"axG",@progbits,_ZN4vllm27concat_and_cache_mla_kernelI14__hip_bfloat16S1_LNS_18Fp8KVCacheDataTypeE0EEEvPKT_S5_PT0_PKliiiiiiiPKf,comdat
	.protected	_ZN4vllm27concat_and_cache_mla_kernelI14__hip_bfloat16S1_LNS_18Fp8KVCacheDataTypeE0EEEvPKT_S5_PT0_PKliiiiiiiPKf ; -- Begin function _ZN4vllm27concat_and_cache_mla_kernelI14__hip_bfloat16S1_LNS_18Fp8KVCacheDataTypeE0EEEvPKT_S5_PT0_PKliiiiiiiPKf
	.globl	_ZN4vllm27concat_and_cache_mla_kernelI14__hip_bfloat16S1_LNS_18Fp8KVCacheDataTypeE0EEEvPKT_S5_PT0_PKliiiiiiiPKf
	.p2align	8
	.type	_ZN4vllm27concat_and_cache_mla_kernelI14__hip_bfloat16S1_LNS_18Fp8KVCacheDataTypeE0EEEvPKT_S5_PT0_PKliiiiiiiPKf,@function
_ZN4vllm27concat_and_cache_mla_kernelI14__hip_bfloat16S1_LNS_18Fp8KVCacheDataTypeE0EEEvPKT_S5_PT0_PKliiiiiiiPKf: ; @_ZN4vllm27concat_and_cache_mla_kernelI14__hip_bfloat16S1_LNS_18Fp8KVCacheDataTypeE0EEEvPKT_S5_PT0_PKliiiiiiiPKf
; %bb.0:
	s_load_dwordx2 s[4:5], s[0:1], 0x18
	s_mov_b32 s3, 0
	s_lshl_b64 s[6:7], s[2:3], 3
	s_waitcnt lgkmcnt(0)
	s_add_u32 s4, s4, s6
	s_addc_u32 s5, s5, s7
	s_load_dwordx2 s[6:7], s[4:5], 0x0
	s_waitcnt lgkmcnt(0)
	v_cmp_lt_i64_e64 s[4:5], s[6:7], 0
	s_and_b64 vcc, exec, s[4:5]
	s_cbranch_vccnz .LBB21_10
; %bb.1:
	s_load_dwordx8 s[8:15], s[0:1], 0x20
	s_waitcnt lgkmcnt(0)
	s_ashr_i32 s15, s14, 31
	s_or_b64 s[4:5], s[6:7], s[14:15]
	s_mov_b32 s4, s3
	s_cmp_lg_u64 s[4:5], 0
	s_cbranch_scc0 .LBB21_11
; %bb.2:
	s_add_u32 s4, s14, s15
	s_mov_b32 s16, s15
	s_mov_b32 s17, s15
	s_addc_u32 s5, s15, s15
	s_xor_b64 s[20:21], s[4:5], s[16:17]
	v_cvt_f32_u32_e32 v1, s20
	v_cvt_f32_u32_e32 v2, s21
	s_sub_u32 s3, 0, s20
	s_subb_u32 s4, 0, s21
	v_fmamk_f32 v1, v2, 0x4f800000, v1
	v_rcp_f32_e32 v1, v1
	s_nop 0
	v_mul_f32_e32 v1, 0x5f7ffffc, v1
	v_mul_f32_e32 v2, 0x2f800000, v1
	v_trunc_f32_e32 v2, v2
	v_fmamk_f32 v1, v2, 0xcf800000, v1
	v_cvt_u32_f32_e32 v2, v2
	v_cvt_u32_f32_e32 v1, v1
	v_readfirstlane_b32 s5, v2
	v_readfirstlane_b32 s22, v1
	s_mul_i32 s23, s3, s5
	s_mul_hi_u32 s25, s3, s22
	s_mul_i32 s24, s4, s22
	s_add_i32 s23, s25, s23
	s_add_i32 s23, s23, s24
	s_mul_i32 s26, s3, s22
	s_mul_hi_u32 s24, s22, s23
	s_mul_i32 s25, s22, s23
	s_mul_hi_u32 s22, s22, s26
	s_add_u32 s22, s22, s25
	s_addc_u32 s24, 0, s24
	s_mul_hi_u32 s27, s5, s26
	s_mul_i32 s26, s5, s26
	s_add_u32 s22, s22, s26
	s_mul_hi_u32 s25, s5, s23
	s_addc_u32 s22, s24, s27
	s_addc_u32 s24, s25, 0
	s_mul_i32 s23, s5, s23
	s_add_u32 s22, s22, s23
	s_addc_u32 s23, 0, s24
	v_add_co_u32_e32 v1, vcc, s22, v1
	s_cmp_lg_u64 vcc, 0
	s_addc_u32 s5, s5, s23
	v_readfirstlane_b32 s23, v1
	s_mul_i32 s22, s3, s5
	s_mul_hi_u32 s24, s3, s23
	s_add_i32 s22, s24, s22
	s_mul_i32 s4, s4, s23
	s_add_i32 s22, s22, s4
	s_mul_i32 s3, s3, s23
	s_mul_hi_u32 s24, s5, s3
	s_mul_i32 s25, s5, s3
	s_mul_i32 s27, s23, s22
	s_mul_hi_u32 s3, s23, s3
	s_mul_hi_u32 s26, s23, s22
	s_add_u32 s3, s3, s27
	s_addc_u32 s23, 0, s26
	s_add_u32 s3, s3, s25
	s_mul_hi_u32 s4, s5, s22
	s_addc_u32 s3, s23, s24
	s_addc_u32 s4, s4, 0
	s_mul_i32 s22, s5, s22
	s_add_u32 s3, s3, s22
	s_addc_u32 s4, 0, s4
	v_add_co_u32_e32 v1, vcc, s3, v1
	s_cmp_lg_u64 vcc, 0
	s_addc_u32 s3, s5, s4
	s_ashr_i32 s22, s7, 31
	s_add_u32 s4, s6, s22
	s_mov_b32 s23, s22
	s_addc_u32 s5, s7, s22
	s_xor_b64 s[24:25], s[4:5], s[22:23]
	v_readfirstlane_b32 s26, v1
	s_mul_i32 s5, s24, s3
	s_mul_hi_u32 s27, s24, s26
	s_mul_hi_u32 s4, s24, s3
	s_add_u32 s5, s27, s5
	s_addc_u32 s4, 0, s4
	s_mul_hi_u32 s28, s25, s26
	s_mul_i32 s26, s25, s26
	s_add_u32 s5, s5, s26
	s_mul_hi_u32 s27, s25, s3
	s_addc_u32 s4, s4, s28
	s_addc_u32 s5, s27, 0
	s_mul_i32 s3, s25, s3
	s_add_u32 s3, s4, s3
	s_addc_u32 s26, 0, s5
	s_mul_i32 s4, s20, s26
	s_mul_hi_u32 s5, s20, s3
	s_add_i32 s4, s5, s4
	s_mul_i32 s5, s21, s3
	s_add_i32 s27, s4, s5
	s_mul_i32 s5, s20, s3
	v_mov_b32_e32 v1, s5
	s_sub_i32 s4, s25, s27
	v_sub_co_u32_e32 v1, vcc, s24, v1
	s_cmp_lg_u64 vcc, 0
	s_subb_u32 s24, s4, s21
	v_subrev_co_u32_e64 v2, s[4:5], s20, v1
	s_cmp_lg_u64 s[4:5], 0
	s_subb_u32 s4, s24, 0
	s_cmp_ge_u32 s4, s21
	v_readfirstlane_b32 s24, v2
	s_cselect_b32 s5, -1, 0
	s_cmp_ge_u32 s24, s20
	s_cselect_b32 s24, -1, 0
	s_cmp_eq_u32 s4, s21
	s_cselect_b32 s4, s24, s5
	s_add_u32 s5, s3, 1
	s_addc_u32 s24, s26, 0
	s_add_u32 s28, s3, 2
	s_addc_u32 s29, s26, 0
	s_cmp_lg_u32 s4, 0
	s_cselect_b32 s4, s28, s5
	s_cselect_b32 s5, s29, s24
	s_cmp_lg_u64 vcc, 0
	s_subb_u32 s24, s25, s27
	s_cmp_ge_u32 s24, s21
	v_readfirstlane_b32 s27, v1
	s_cselect_b32 s25, -1, 0
	s_cmp_ge_u32 s27, s20
	s_cselect_b32 s20, -1, 0
	s_cmp_eq_u32 s24, s21
	s_cselect_b32 s20, s20, s25
	s_cmp_lg_u32 s20, 0
	s_cselect_b32 s5, s5, s26
	s_cselect_b32 s4, s4, s3
	s_xor_b64 s[16:17], s[22:23], s[16:17]
	s_xor_b64 s[4:5], s[4:5], s[16:17]
	s_sub_u32 s16, s4, s16
	s_subb_u32 s17, s5, s17
	s_load_dwordx2 s[4:5], s[0:1], 0x10
	s_cbranch_execnz .LBB21_4
.LBB21_3:
	v_cvt_f32_u32_e32 v1, s14
	s_sub_i32 s3, 0, s14
	s_mov_b32 s17, 0
	v_rcp_iflag_f32_e32 v1, v1
	s_nop 0
	v_mul_f32_e32 v1, 0x4f7ffffe, v1
	v_cvt_u32_f32_e32 v1, v1
	s_nop 0
	v_readfirstlane_b32 s16, v1
	s_mul_i32 s3, s3, s16
	s_mul_hi_u32 s3, s16, s3
	s_add_i32 s16, s16, s3
	s_mul_hi_u32 s3, s6, s16
	s_mul_i32 s18, s3, s14
	s_sub_i32 s18, s6, s18
	s_add_i32 s16, s3, 1
	s_sub_i32 s19, s18, s14
	s_cmp_ge_u32 s18, s14
	s_cselect_b32 s3, s16, s3
	s_cselect_b32 s18, s19, s18
	s_add_i32 s16, s3, 1
	s_cmp_ge_u32 s18, s14
	s_cselect_b32 s16, s16, s3
.LBB21_4:
	s_mul_i32 s3, s16, s15
	s_mul_hi_u32 s15, s16, s14
	s_load_dwordx2 s[18:19], s[0:1], 0x8
	s_add_i32 s3, s15, s3
	s_mul_i32 s15, s17, s14
	s_add_i32 s15, s3, s15
	s_mul_i32 s3, s16, s14
	s_sub_u32 s3, s6, s3
	s_subb_u32 s28, s7, s15
	v_cmp_gt_i32_e32 vcc, s12, v0
	s_mul_hi_u32 s29, s16, s8
	s_mul_i32 s30, s17, s8
	s_mul_i32 s6, s16, s8
	s_mul_hi_u32 s17, s3, s9
	s_mul_i32 s28, s28, s9
	s_mul_i32 s14, s3, s9
	s_and_saveexec_b64 s[20:21], vcc
	s_cbranch_execz .LBB21_7
; %bb.5:
	s_ashr_i32 s7, s10, 31
	s_mul_hi_u32 s15, s10, s2
	s_mul_i32 s7, s7, s2
	s_load_dwordx2 s[24:25], s[0:1], 0x0
	s_add_i32 s23, s15, s7
	s_mul_i32 s22, s10, s2
	s_ashr_i32 s7, s8, 31
	s_ashr_i32 s10, s9, 31
	s_mul_i32 s7, s16, s7
	s_mul_i32 s10, s3, s10
	s_add_i32 s7, s29, s7
	s_add_i32 s10, s17, s10
	;; [unrolled: 1-line block ×4, first 2 shown]
	s_load_dword s10, s[0:1], 0x54
	s_lshl_b64 s[22:23], s[22:23], 1
	s_waitcnt lgkmcnt(0)
	s_add_u32 s22, s24, s22
	s_addc_u32 s23, s25, s23
	s_lshl_b64 s[24:25], s[6:7], 1
	s_add_u32 s7, s4, s24
	s_addc_u32 s26, s5, s25
	s_lshl_b64 s[24:25], s[14:15], 1
	s_add_u32 s24, s7, s24
	s_addc_u32 s25, s26, s25
	s_and_b32 s7, s10, 0xffff
	s_mov_b64 s[26:27], 0
	v_mov_b32_e32 v2, v0
.LBB21_6:                               ; =>This Inner Loop Header: Depth=1
	v_ashrrev_i32_e32 v3, 31, v2
	v_lshlrev_b64 v[4:5], 1, v[2:3]
	v_lshl_add_u64 v[6:7], s[22:23], 0, v[4:5]
	global_load_ushort v1, v[6:7], off
	v_add_u32_e32 v2, s7, v2
	v_cmp_le_i32_e32 vcc, s12, v2
	v_lshl_add_u64 v[4:5], s[24:25], 0, v[4:5]
	s_or_b64 s[26:27], vcc, s[26:27]
	s_waitcnt vmcnt(0)
	global_store_short v[4:5], v1, off
	s_andn2_b64 exec, exec, s[26:27]
	s_cbranch_execnz .LBB21_6
.LBB21_7:
	s_or_b64 exec, exec, s[20:21]
	v_cmp_gt_i32_e32 vcc, s13, v0
	s_and_saveexec_b64 s[20:21], vcc
	s_cbranch_execz .LBB21_10
; %bb.8:
	s_ashr_i32 s7, s11, 31
	s_mul_hi_u32 s10, s11, s2
	s_mul_i32 s7, s7, s2
	s_mul_i32 s20, s11, s2
	s_ashr_i32 s2, s8, 31
	s_mul_i32 s2, s16, s2
	s_add_i32 s2, s29, s2
	s_add_i32 s21, s10, s7
	;; [unrolled: 1-line block ×3, first 2 shown]
	s_ashr_i32 s2, s9, 31
	s_mul_i32 s3, s3, s2
	s_add_i32 s2, s17, s3
	s_add_i32 s15, s2, s28
	s_ashr_i32 s9, s12, 31
	s_lshl_b64 s[2:3], s[20:21], 1
	s_waitcnt lgkmcnt(0)
	s_add_u32 s2, s18, s2
	s_addc_u32 s3, s19, s3
	s_lshl_b64 s[6:7], s[6:7], 1
	s_add_u32 s6, s4, s6
	s_addc_u32 s7, s5, s7
	s_lshl_b64 s[4:5], s[14:15], 1
	s_add_u32 s4, s6, s4
	s_load_dword s6, s[0:1], 0x54
	s_mov_b32 s8, s12
	s_addc_u32 s5, s7, s5
	s_lshl_b64 s[0:1], s[8:9], 1
	s_add_u32 s0, s4, s0
	s_addc_u32 s1, s5, s1
	s_waitcnt lgkmcnt(0)
	s_and_b32 s6, s6, 0xffff
	s_mov_b64 s[4:5], 0
.LBB21_9:                               ; =>This Inner Loop Header: Depth=1
	v_ashrrev_i32_e32 v1, 31, v0
	v_lshlrev_b64 v[2:3], 1, v[0:1]
	v_lshl_add_u64 v[4:5], s[2:3], 0, v[2:3]
	global_load_ushort v1, v[4:5], off
	v_add_u32_e32 v0, s6, v0
	v_cmp_le_i32_e32 vcc, s13, v0
	v_lshl_add_u64 v[2:3], s[0:1], 0, v[2:3]
	s_or_b64 s[4:5], vcc, s[4:5]
	s_waitcnt vmcnt(0)
	global_store_short v[2:3], v1, off
	s_andn2_b64 exec, exec, s[4:5]
	s_cbranch_execnz .LBB21_9
.LBB21_10:
	s_endpgm
.LBB21_11:
                                        ; implicit-def: $sgpr16_sgpr17
	s_load_dwordx2 s[4:5], s[0:1], 0x10
	s_branch .LBB21_3
	.section	.rodata,"a",@progbits
	.p2align	6, 0x0
	.amdhsa_kernel _ZN4vllm27concat_and_cache_mla_kernelI14__hip_bfloat16S1_LNS_18Fp8KVCacheDataTypeE0EEEvPKT_S5_PT0_PKliiiiiiiPKf
		.amdhsa_group_segment_fixed_size 0
		.amdhsa_private_segment_fixed_size 0
		.amdhsa_kernarg_size 328
		.amdhsa_user_sgpr_count 2
		.amdhsa_user_sgpr_dispatch_ptr 0
		.amdhsa_user_sgpr_queue_ptr 0
		.amdhsa_user_sgpr_kernarg_segment_ptr 1
		.amdhsa_user_sgpr_dispatch_id 0
		.amdhsa_user_sgpr_kernarg_preload_length 0
		.amdhsa_user_sgpr_kernarg_preload_offset 0
		.amdhsa_user_sgpr_private_segment_size 0
		.amdhsa_uses_dynamic_stack 0
		.amdhsa_enable_private_segment 0
		.amdhsa_system_sgpr_workgroup_id_x 1
		.amdhsa_system_sgpr_workgroup_id_y 0
		.amdhsa_system_sgpr_workgroup_id_z 0
		.amdhsa_system_sgpr_workgroup_info 0
		.amdhsa_system_vgpr_workitem_id 0
		.amdhsa_next_free_vgpr 8
		.amdhsa_next_free_sgpr 31
		.amdhsa_accum_offset 8
		.amdhsa_reserve_vcc 1
		.amdhsa_float_round_mode_32 0
		.amdhsa_float_round_mode_16_64 0
		.amdhsa_float_denorm_mode_32 3
		.amdhsa_float_denorm_mode_16_64 3
		.amdhsa_dx10_clamp 1
		.amdhsa_ieee_mode 1
		.amdhsa_fp16_overflow 0
		.amdhsa_tg_split 0
		.amdhsa_exception_fp_ieee_invalid_op 0
		.amdhsa_exception_fp_denorm_src 0
		.amdhsa_exception_fp_ieee_div_zero 0
		.amdhsa_exception_fp_ieee_overflow 0
		.amdhsa_exception_fp_ieee_underflow 0
		.amdhsa_exception_fp_ieee_inexact 0
		.amdhsa_exception_int_div_zero 0
	.end_amdhsa_kernel
	.section	.text._ZN4vllm27concat_and_cache_mla_kernelI14__hip_bfloat16S1_LNS_18Fp8KVCacheDataTypeE0EEEvPKT_S5_PT0_PKliiiiiiiPKf,"axG",@progbits,_ZN4vllm27concat_and_cache_mla_kernelI14__hip_bfloat16S1_LNS_18Fp8KVCacheDataTypeE0EEEvPKT_S5_PT0_PKliiiiiiiPKf,comdat
.Lfunc_end21:
	.size	_ZN4vllm27concat_and_cache_mla_kernelI14__hip_bfloat16S1_LNS_18Fp8KVCacheDataTypeE0EEEvPKT_S5_PT0_PKliiiiiiiPKf, .Lfunc_end21-_ZN4vllm27concat_and_cache_mla_kernelI14__hip_bfloat16S1_LNS_18Fp8KVCacheDataTypeE0EEEvPKT_S5_PT0_PKliiiiiiiPKf
                                        ; -- End function
	.section	.AMDGPU.csdata,"",@progbits
; Kernel info:
; codeLenInByte = 1244
; NumSgprs: 37
; NumVgprs: 8
; NumAgprs: 0
; TotalNumVgprs: 8
; ScratchSize: 0
; MemoryBound: 0
; FloatMode: 240
; IeeeMode: 1
; LDSByteSize: 0 bytes/workgroup (compile time only)
; SGPRBlocks: 4
; VGPRBlocks: 0
; NumSGPRsForWavesPerEU: 37
; NumVGPRsForWavesPerEU: 8
; AccumOffset: 8
; Occupancy: 8
; WaveLimiterHint : 0
; COMPUTE_PGM_RSRC2:SCRATCH_EN: 0
; COMPUTE_PGM_RSRC2:USER_SGPR: 2
; COMPUTE_PGM_RSRC2:TRAP_HANDLER: 0
; COMPUTE_PGM_RSRC2:TGID_X_EN: 1
; COMPUTE_PGM_RSRC2:TGID_Y_EN: 0
; COMPUTE_PGM_RSRC2:TGID_Z_EN: 0
; COMPUTE_PGM_RSRC2:TIDIG_COMP_CNT: 0
; COMPUTE_PGM_RSRC3_GFX90A:ACCUM_OFFSET: 1
; COMPUTE_PGM_RSRC3_GFX90A:TG_SPLIT: 0
	.section	.text._ZN4vllm27concat_and_cache_mla_kernelIfhLNS_18Fp8KVCacheDataTypeE1EEEvPKT_S4_PT0_PKliiiiiiiPKf,"axG",@progbits,_ZN4vllm27concat_and_cache_mla_kernelIfhLNS_18Fp8KVCacheDataTypeE1EEEvPKT_S4_PT0_PKliiiiiiiPKf,comdat
	.protected	_ZN4vllm27concat_and_cache_mla_kernelIfhLNS_18Fp8KVCacheDataTypeE1EEEvPKT_S4_PT0_PKliiiiiiiPKf ; -- Begin function _ZN4vllm27concat_and_cache_mla_kernelIfhLNS_18Fp8KVCacheDataTypeE1EEEvPKT_S4_PT0_PKliiiiiiiPKf
	.globl	_ZN4vllm27concat_and_cache_mla_kernelIfhLNS_18Fp8KVCacheDataTypeE1EEEvPKT_S4_PT0_PKliiiiiiiPKf
	.p2align	8
	.type	_ZN4vllm27concat_and_cache_mla_kernelIfhLNS_18Fp8KVCacheDataTypeE1EEEvPKT_S4_PT0_PKliiiiiiiPKf,@function
_ZN4vllm27concat_and_cache_mla_kernelIfhLNS_18Fp8KVCacheDataTypeE1EEEvPKT_S4_PT0_PKliiiiiiiPKf: ; @_ZN4vllm27concat_and_cache_mla_kernelIfhLNS_18Fp8KVCacheDataTypeE1EEEvPKT_S4_PT0_PKliiiiiiiPKf
; %bb.0:
	s_load_dwordx2 s[4:5], s[0:1], 0x18
	s_mov_b32 s3, 0
	s_lshl_b64 s[6:7], s[2:3], 3
	s_waitcnt lgkmcnt(0)
	s_add_u32 s4, s4, s6
	s_addc_u32 s5, s5, s7
	s_load_dwordx2 s[6:7], s[4:5], 0x0
	s_waitcnt lgkmcnt(0)
	v_cmp_lt_i64_e64 s[4:5], s[6:7], 0
	s_and_b64 vcc, exec, s[4:5]
	s_cbranch_vccnz .LBB22_10
; %bb.1:
	s_load_dwordx8 s[8:15], s[0:1], 0x20
	s_waitcnt lgkmcnt(0)
	s_ashr_i32 s15, s14, 31
	s_or_b64 s[4:5], s[6:7], s[14:15]
	s_mov_b32 s4, s3
	s_cmp_lg_u64 s[4:5], 0
	s_cbranch_scc0 .LBB22_11
; %bb.2:
	s_add_u32 s4, s14, s15
	s_mov_b32 s16, s15
	s_mov_b32 s17, s15
	s_addc_u32 s5, s15, s15
	s_xor_b64 s[20:21], s[4:5], s[16:17]
	v_cvt_f32_u32_e32 v1, s20
	v_cvt_f32_u32_e32 v2, s21
	s_sub_u32 s3, 0, s20
	s_subb_u32 s4, 0, s21
	v_fmamk_f32 v1, v2, 0x4f800000, v1
	v_rcp_f32_e32 v1, v1
	s_nop 0
	v_mul_f32_e32 v1, 0x5f7ffffc, v1
	v_mul_f32_e32 v2, 0x2f800000, v1
	v_trunc_f32_e32 v2, v2
	v_fmamk_f32 v1, v2, 0xcf800000, v1
	v_cvt_u32_f32_e32 v2, v2
	v_cvt_u32_f32_e32 v1, v1
	v_readfirstlane_b32 s5, v2
	v_readfirstlane_b32 s22, v1
	s_mul_i32 s23, s3, s5
	s_mul_hi_u32 s25, s3, s22
	s_mul_i32 s24, s4, s22
	s_add_i32 s23, s25, s23
	s_add_i32 s23, s23, s24
	s_mul_i32 s26, s3, s22
	s_mul_hi_u32 s24, s22, s23
	s_mul_i32 s25, s22, s23
	s_mul_hi_u32 s22, s22, s26
	s_add_u32 s22, s22, s25
	s_addc_u32 s24, 0, s24
	s_mul_hi_u32 s27, s5, s26
	s_mul_i32 s26, s5, s26
	s_add_u32 s22, s22, s26
	s_mul_hi_u32 s25, s5, s23
	s_addc_u32 s22, s24, s27
	s_addc_u32 s24, s25, 0
	s_mul_i32 s23, s5, s23
	s_add_u32 s22, s22, s23
	s_addc_u32 s23, 0, s24
	v_add_co_u32_e32 v1, vcc, s22, v1
	s_cmp_lg_u64 vcc, 0
	s_addc_u32 s5, s5, s23
	v_readfirstlane_b32 s23, v1
	s_mul_i32 s22, s3, s5
	s_mul_hi_u32 s24, s3, s23
	s_add_i32 s22, s24, s22
	s_mul_i32 s4, s4, s23
	s_add_i32 s22, s22, s4
	s_mul_i32 s3, s3, s23
	s_mul_hi_u32 s24, s5, s3
	s_mul_i32 s25, s5, s3
	s_mul_i32 s27, s23, s22
	s_mul_hi_u32 s3, s23, s3
	s_mul_hi_u32 s26, s23, s22
	s_add_u32 s3, s3, s27
	s_addc_u32 s23, 0, s26
	s_add_u32 s3, s3, s25
	s_mul_hi_u32 s4, s5, s22
	s_addc_u32 s3, s23, s24
	s_addc_u32 s4, s4, 0
	s_mul_i32 s22, s5, s22
	s_add_u32 s3, s3, s22
	s_addc_u32 s4, 0, s4
	v_add_co_u32_e32 v1, vcc, s3, v1
	s_cmp_lg_u64 vcc, 0
	s_addc_u32 s3, s5, s4
	s_ashr_i32 s22, s7, 31
	s_add_u32 s4, s6, s22
	s_mov_b32 s23, s22
	s_addc_u32 s5, s7, s22
	s_xor_b64 s[24:25], s[4:5], s[22:23]
	v_readfirstlane_b32 s26, v1
	s_mul_i32 s5, s24, s3
	s_mul_hi_u32 s27, s24, s26
	s_mul_hi_u32 s4, s24, s3
	s_add_u32 s5, s27, s5
	s_addc_u32 s4, 0, s4
	s_mul_hi_u32 s28, s25, s26
	s_mul_i32 s26, s25, s26
	s_add_u32 s5, s5, s26
	s_mul_hi_u32 s27, s25, s3
	s_addc_u32 s4, s4, s28
	s_addc_u32 s5, s27, 0
	s_mul_i32 s3, s25, s3
	s_add_u32 s3, s4, s3
	s_addc_u32 s26, 0, s5
	s_mul_i32 s4, s20, s26
	s_mul_hi_u32 s5, s20, s3
	s_add_i32 s4, s5, s4
	s_mul_i32 s5, s21, s3
	s_add_i32 s27, s4, s5
	s_mul_i32 s5, s20, s3
	v_mov_b32_e32 v1, s5
	s_sub_i32 s4, s25, s27
	v_sub_co_u32_e32 v1, vcc, s24, v1
	s_cmp_lg_u64 vcc, 0
	s_subb_u32 s24, s4, s21
	v_subrev_co_u32_e64 v2, s[4:5], s20, v1
	s_cmp_lg_u64 s[4:5], 0
	s_subb_u32 s4, s24, 0
	s_cmp_ge_u32 s4, s21
	v_readfirstlane_b32 s24, v2
	s_cselect_b32 s5, -1, 0
	s_cmp_ge_u32 s24, s20
	s_cselect_b32 s24, -1, 0
	s_cmp_eq_u32 s4, s21
	s_cselect_b32 s4, s24, s5
	s_add_u32 s5, s3, 1
	s_addc_u32 s24, s26, 0
	s_add_u32 s28, s3, 2
	s_addc_u32 s29, s26, 0
	s_cmp_lg_u32 s4, 0
	s_cselect_b32 s4, s28, s5
	s_cselect_b32 s5, s29, s24
	s_cmp_lg_u64 vcc, 0
	s_subb_u32 s24, s25, s27
	s_cmp_ge_u32 s24, s21
	v_readfirstlane_b32 s27, v1
	s_cselect_b32 s25, -1, 0
	s_cmp_ge_u32 s27, s20
	s_cselect_b32 s20, -1, 0
	s_cmp_eq_u32 s24, s21
	s_cselect_b32 s20, s20, s25
	s_cmp_lg_u32 s20, 0
	s_cselect_b32 s5, s5, s26
	s_cselect_b32 s4, s4, s3
	s_xor_b64 s[16:17], s[22:23], s[16:17]
	s_xor_b64 s[4:5], s[4:5], s[16:17]
	s_sub_u32 s16, s4, s16
	s_subb_u32 s17, s5, s17
	s_load_dwordx2 s[4:5], s[0:1], 0x10
	s_cbranch_execnz .LBB22_4
.LBB22_3:
	v_cvt_f32_u32_e32 v1, s14
	s_sub_i32 s3, 0, s14
	s_mov_b32 s17, 0
	v_rcp_iflag_f32_e32 v1, v1
	s_nop 0
	v_mul_f32_e32 v1, 0x4f7ffffe, v1
	v_cvt_u32_f32_e32 v1, v1
	s_nop 0
	v_readfirstlane_b32 s16, v1
	s_mul_i32 s3, s3, s16
	s_mul_hi_u32 s3, s16, s3
	s_add_i32 s16, s16, s3
	s_mul_hi_u32 s3, s6, s16
	s_mul_i32 s18, s3, s14
	s_sub_i32 s18, s6, s18
	s_add_i32 s16, s3, 1
	s_sub_i32 s19, s18, s14
	s_cmp_ge_u32 s18, s14
	s_cselect_b32 s3, s16, s3
	s_cselect_b32 s18, s19, s18
	s_add_i32 s16, s3, 1
	s_cmp_ge_u32 s18, s14
	s_cselect_b32 s16, s16, s3
.LBB22_4:
	s_mul_i32 s3, s16, s15
	s_mul_hi_u32 s15, s16, s14
	s_load_dwordx2 s[20:21], s[0:1], 0x8
	s_load_dwordx2 s[18:19], s[0:1], 0x40
	s_add_i32 s3, s15, s3
	s_mul_i32 s15, s17, s14
	s_add_i32 s15, s3, s15
	s_mul_i32 s3, s16, s14
	s_sub_u32 s3, s6, s3
	s_subb_u32 s28, s7, s15
	v_cmp_gt_i32_e32 vcc, s12, v0
	s_mul_hi_u32 s29, s16, s8
	s_mul_i32 s30, s17, s8
	s_mul_i32 s26, s16, s8
	s_mul_hi_u32 s27, s3, s9
	s_mul_i32 s28, s28, s9
	s_mul_i32 s17, s3, s9
	s_and_saveexec_b64 s[6:7], vcc
	s_cbranch_execz .LBB22_7
; %bb.5:
	s_ashr_i32 s14, s10, 31
	s_mul_hi_u32 s15, s10, s2
	s_mul_i32 s14, s14, s2
	s_add_i32 s15, s15, s14
	s_mul_i32 s14, s10, s2
	s_ashr_i32 s10, s8, 31
	s_mul_i32 s10, s16, s10
	s_add_i32 s10, s29, s10
	s_load_dwordx2 s[22:23], s[0:1], 0x0
	s_load_dword s31, s[0:1], 0x54
	s_add_i32 s24, s10, s30
	s_ashr_i32 s10, s9, 31
	s_mul_i32 s10, s3, s10
	s_add_i32 s10, s27, s10
	s_add_i32 s25, s10, s28
	s_lshl_b64 s[14:15], s[14:15], 2
	s_waitcnt lgkmcnt(0)
	s_add_u32 s14, s22, s14
	s_addc_u32 s15, s23, s15
	s_load_dword s10, s[18:19], 0x0
	s_add_u32 s22, s4, s26
	s_addc_u32 s23, s5, s24
	s_add_u32 s22, s22, s17
	s_addc_u32 s23, s23, s25
	s_and_b32 s31, s31, 0xffff
	s_mov_b64 s[24:25], 0
	s_mov_b32 s33, 0x7f800000
	s_mov_b32 s34, 0x43700000
	v_mov_b32_e32 v1, 0xc3700000
	v_mov_b32_e32 v2, v0
.LBB22_6:                               ; =>This Inner Loop Header: Depth=1
	v_ashrrev_i32_e32 v3, 31, v2
	v_lshl_add_u64 v[4:5], v[2:3], 2, s[14:15]
	global_load_dword v4, v[4:5], off
	v_mov_b32_e32 v7, 0
	s_waitcnt vmcnt(0) lgkmcnt(0)
	v_div_scale_f32 v5, s[36:37], s10, s10, v4
	v_rcp_f32_e32 v6, v5
	v_div_scale_f32 v8, vcc, v4, s10, v4
	v_fma_f32 v9, -v5, v6, 1.0
	v_fmac_f32_e32 v6, v9, v6
	v_mul_f32_e32 v9, v8, v6
	v_fma_f32 v10, -v5, v9, v8
	v_fmac_f32_e32 v9, v10, v6
	v_fma_f32 v5, -v5, v9, v8
	v_div_fmas_f32 v5, v5, v6, v9
	v_div_fixup_f32 v4, v5, s10, v4
	v_med3_f32 v5, v4, s34, v1
	v_cmp_nlg_f32_e64 vcc, |v4|, s33
	s_nop 1
	v_cndmask_b32_e32 v4, v5, v4, vcc
	v_cvt_pk_fp8_f32 v7, v4, v4
	v_lshl_add_u64 v[4:5], s[22:23], 0, v[2:3]
	v_add_u32_e32 v2, s31, v2
	v_cmp_le_i32_e32 vcc, s12, v2
	s_or_b64 s[24:25], vcc, s[24:25]
	global_store_byte v[4:5], v7, off
	s_andn2_b64 exec, exec, s[24:25]
	s_cbranch_execnz .LBB22_6
.LBB22_7:
	s_or_b64 exec, exec, s[6:7]
	v_cmp_gt_i32_e32 vcc, s13, v0
	s_and_saveexec_b64 s[6:7], vcc
	s_cbranch_execz .LBB22_10
; %bb.8:
	s_ashr_i32 s6, s11, 31
	s_mul_hi_u32 s7, s11, s2
	s_mul_i32 s6, s6, s2
	s_add_i32 s7, s7, s6
	s_mul_i32 s6, s11, s2
	s_ashr_i32 s2, s8, 31
	s_mul_i32 s2, s16, s2
	s_add_i32 s2, s29, s2
	s_add_i32 s8, s2, s30
	s_ashr_i32 s2, s9, 31
	s_mul_i32 s3, s3, s2
	s_add_i32 s2, s27, s3
	s_add_i32 s9, s2, s28
	s_ashr_i32 s10, s12, 31
	s_lshl_b64 s[2:3], s[6:7], 2
	s_waitcnt lgkmcnt(0)
	s_add_u32 s2, s20, s2
	s_addc_u32 s3, s21, s3
	s_add_u32 s4, s4, s26
	s_load_dword s7, s[0:1], 0x54
	s_load_dword s6, s[18:19], 0x0
	s_addc_u32 s5, s5, s8
	s_add_u32 s0, s4, s17
	s_addc_u32 s1, s5, s9
	s_add_u32 s0, s0, s12
	s_addc_u32 s1, s1, s10
	s_waitcnt lgkmcnt(0)
	s_and_b32 s7, s7, 0xffff
	s_mov_b64 s[4:5], 0
	s_mov_b32 s8, 0x7f800000
	s_mov_b32 s9, 0x43700000
	v_mov_b32_e32 v2, 0xc3700000
.LBB22_9:                               ; =>This Inner Loop Header: Depth=1
	v_ashrrev_i32_e32 v1, 31, v0
	v_lshl_add_u64 v[4:5], v[0:1], 2, s[2:3]
	global_load_dword v3, v[4:5], off
	v_mov_b32_e32 v6, 0
	s_waitcnt vmcnt(0)
	v_div_scale_f32 v4, s[10:11], s6, s6, v3
	v_rcp_f32_e32 v5, v4
	v_div_scale_f32 v7, vcc, v3, s6, v3
	v_fma_f32 v8, -v4, v5, 1.0
	v_fmac_f32_e32 v5, v8, v5
	v_mul_f32_e32 v8, v7, v5
	v_fma_f32 v9, -v4, v8, v7
	v_fmac_f32_e32 v8, v9, v5
	v_fma_f32 v4, -v4, v8, v7
	v_div_fmas_f32 v4, v4, v5, v8
	v_div_fixup_f32 v3, v4, s6, v3
	v_med3_f32 v4, v3, s9, v2
	v_cmp_nlg_f32_e64 vcc, |v3|, s8
	s_nop 1
	v_cndmask_b32_e32 v3, v4, v3, vcc
	v_cvt_pk_fp8_f32 v6, v3, v3
	v_lshl_add_u64 v[4:5], s[0:1], 0, v[0:1]
	v_add_u32_e32 v0, s7, v0
	v_cmp_le_i32_e32 vcc, s13, v0
	s_or_b64 s[4:5], vcc, s[4:5]
	global_store_byte v[4:5], v6, off
	s_andn2_b64 exec, exec, s[4:5]
	s_cbranch_execnz .LBB22_9
.LBB22_10:
	s_endpgm
.LBB22_11:
                                        ; implicit-def: $sgpr16_sgpr17
	s_load_dwordx2 s[4:5], s[0:1], 0x10
	s_branch .LBB22_3
	.section	.rodata,"a",@progbits
	.p2align	6, 0x0
	.amdhsa_kernel _ZN4vllm27concat_and_cache_mla_kernelIfhLNS_18Fp8KVCacheDataTypeE1EEEvPKT_S4_PT0_PKliiiiiiiPKf
		.amdhsa_group_segment_fixed_size 0
		.amdhsa_private_segment_fixed_size 0
		.amdhsa_kernarg_size 328
		.amdhsa_user_sgpr_count 2
		.amdhsa_user_sgpr_dispatch_ptr 0
		.amdhsa_user_sgpr_queue_ptr 0
		.amdhsa_user_sgpr_kernarg_segment_ptr 1
		.amdhsa_user_sgpr_dispatch_id 0
		.amdhsa_user_sgpr_kernarg_preload_length 0
		.amdhsa_user_sgpr_kernarg_preload_offset 0
		.amdhsa_user_sgpr_private_segment_size 0
		.amdhsa_uses_dynamic_stack 0
		.amdhsa_enable_private_segment 0
		.amdhsa_system_sgpr_workgroup_id_x 1
		.amdhsa_system_sgpr_workgroup_id_y 0
		.amdhsa_system_sgpr_workgroup_id_z 0
		.amdhsa_system_sgpr_workgroup_info 0
		.amdhsa_system_vgpr_workitem_id 0
		.amdhsa_next_free_vgpr 11
		.amdhsa_next_free_sgpr 38
		.amdhsa_accum_offset 12
		.amdhsa_reserve_vcc 1
		.amdhsa_float_round_mode_32 0
		.amdhsa_float_round_mode_16_64 0
		.amdhsa_float_denorm_mode_32 3
		.amdhsa_float_denorm_mode_16_64 3
		.amdhsa_dx10_clamp 1
		.amdhsa_ieee_mode 1
		.amdhsa_fp16_overflow 0
		.amdhsa_tg_split 0
		.amdhsa_exception_fp_ieee_invalid_op 0
		.amdhsa_exception_fp_denorm_src 0
		.amdhsa_exception_fp_ieee_div_zero 0
		.amdhsa_exception_fp_ieee_overflow 0
		.amdhsa_exception_fp_ieee_underflow 0
		.amdhsa_exception_fp_ieee_inexact 0
		.amdhsa_exception_int_div_zero 0
	.end_amdhsa_kernel
	.section	.text._ZN4vllm27concat_and_cache_mla_kernelIfhLNS_18Fp8KVCacheDataTypeE1EEEvPKT_S4_PT0_PKliiiiiiiPKf,"axG",@progbits,_ZN4vllm27concat_and_cache_mla_kernelIfhLNS_18Fp8KVCacheDataTypeE1EEEvPKT_S4_PT0_PKliiiiiiiPKf,comdat
.Lfunc_end22:
	.size	_ZN4vllm27concat_and_cache_mla_kernelIfhLNS_18Fp8KVCacheDataTypeE1EEEvPKT_S4_PT0_PKliiiiiiiPKf, .Lfunc_end22-_ZN4vllm27concat_and_cache_mla_kernelIfhLNS_18Fp8KVCacheDataTypeE1EEEvPKT_S4_PT0_PKliiiiiiiPKf
                                        ; -- End function
	.section	.AMDGPU.csdata,"",@progbits
; Kernel info:
; codeLenInByte = 1492
; NumSgprs: 44
; NumVgprs: 11
; NumAgprs: 0
; TotalNumVgprs: 11
; ScratchSize: 0
; MemoryBound: 0
; FloatMode: 240
; IeeeMode: 1
; LDSByteSize: 0 bytes/workgroup (compile time only)
; SGPRBlocks: 5
; VGPRBlocks: 1
; NumSGPRsForWavesPerEU: 44
; NumVGPRsForWavesPerEU: 11
; AccumOffset: 12
; Occupancy: 8
; WaveLimiterHint : 0
; COMPUTE_PGM_RSRC2:SCRATCH_EN: 0
; COMPUTE_PGM_RSRC2:USER_SGPR: 2
; COMPUTE_PGM_RSRC2:TRAP_HANDLER: 0
; COMPUTE_PGM_RSRC2:TGID_X_EN: 1
; COMPUTE_PGM_RSRC2:TGID_Y_EN: 0
; COMPUTE_PGM_RSRC2:TGID_Z_EN: 0
; COMPUTE_PGM_RSRC2:TIDIG_COMP_CNT: 0
; COMPUTE_PGM_RSRC3_GFX90A:ACCUM_OFFSET: 2
; COMPUTE_PGM_RSRC3_GFX90A:TG_SPLIT: 0
	.section	.text._ZN4vllm27concat_and_cache_mla_kernelIthLNS_18Fp8KVCacheDataTypeE1EEEvPKT_S4_PT0_PKliiiiiiiPKf,"axG",@progbits,_ZN4vllm27concat_and_cache_mla_kernelIthLNS_18Fp8KVCacheDataTypeE1EEEvPKT_S4_PT0_PKliiiiiiiPKf,comdat
	.protected	_ZN4vllm27concat_and_cache_mla_kernelIthLNS_18Fp8KVCacheDataTypeE1EEEvPKT_S4_PT0_PKliiiiiiiPKf ; -- Begin function _ZN4vllm27concat_and_cache_mla_kernelIthLNS_18Fp8KVCacheDataTypeE1EEEvPKT_S4_PT0_PKliiiiiiiPKf
	.globl	_ZN4vllm27concat_and_cache_mla_kernelIthLNS_18Fp8KVCacheDataTypeE1EEEvPKT_S4_PT0_PKliiiiiiiPKf
	.p2align	8
	.type	_ZN4vllm27concat_and_cache_mla_kernelIthLNS_18Fp8KVCacheDataTypeE1EEEvPKT_S4_PT0_PKliiiiiiiPKf,@function
_ZN4vllm27concat_and_cache_mla_kernelIthLNS_18Fp8KVCacheDataTypeE1EEEvPKT_S4_PT0_PKliiiiiiiPKf: ; @_ZN4vllm27concat_and_cache_mla_kernelIthLNS_18Fp8KVCacheDataTypeE1EEEvPKT_S4_PT0_PKliiiiiiiPKf
; %bb.0:
	s_load_dwordx2 s[4:5], s[0:1], 0x18
	s_mov_b32 s3, 0
	s_lshl_b64 s[6:7], s[2:3], 3
	s_waitcnt lgkmcnt(0)
	s_add_u32 s4, s4, s6
	s_addc_u32 s5, s5, s7
	s_load_dwordx2 s[6:7], s[4:5], 0x0
	s_waitcnt lgkmcnt(0)
	v_cmp_lt_i64_e64 s[4:5], s[6:7], 0
	s_and_b64 vcc, exec, s[4:5]
	s_cbranch_vccnz .LBB23_10
; %bb.1:
	s_load_dwordx8 s[8:15], s[0:1], 0x20
	s_waitcnt lgkmcnt(0)
	s_ashr_i32 s15, s14, 31
	s_or_b64 s[4:5], s[6:7], s[14:15]
	s_mov_b32 s4, s3
	s_cmp_lg_u64 s[4:5], 0
	s_cbranch_scc0 .LBB23_11
; %bb.2:
	s_add_u32 s4, s14, s15
	s_mov_b32 s16, s15
	s_mov_b32 s17, s15
	s_addc_u32 s5, s15, s15
	s_xor_b64 s[20:21], s[4:5], s[16:17]
	v_cvt_f32_u32_e32 v1, s20
	v_cvt_f32_u32_e32 v2, s21
	s_sub_u32 s3, 0, s20
	s_subb_u32 s4, 0, s21
	v_fmamk_f32 v1, v2, 0x4f800000, v1
	v_rcp_f32_e32 v1, v1
	s_nop 0
	v_mul_f32_e32 v1, 0x5f7ffffc, v1
	v_mul_f32_e32 v2, 0x2f800000, v1
	v_trunc_f32_e32 v2, v2
	v_fmamk_f32 v1, v2, 0xcf800000, v1
	v_cvt_u32_f32_e32 v2, v2
	v_cvt_u32_f32_e32 v1, v1
	v_readfirstlane_b32 s5, v2
	v_readfirstlane_b32 s22, v1
	s_mul_i32 s23, s3, s5
	s_mul_hi_u32 s25, s3, s22
	s_mul_i32 s24, s4, s22
	s_add_i32 s23, s25, s23
	s_add_i32 s23, s23, s24
	s_mul_i32 s26, s3, s22
	s_mul_hi_u32 s24, s22, s23
	s_mul_i32 s25, s22, s23
	s_mul_hi_u32 s22, s22, s26
	s_add_u32 s22, s22, s25
	s_addc_u32 s24, 0, s24
	s_mul_hi_u32 s27, s5, s26
	s_mul_i32 s26, s5, s26
	s_add_u32 s22, s22, s26
	s_mul_hi_u32 s25, s5, s23
	s_addc_u32 s22, s24, s27
	s_addc_u32 s24, s25, 0
	s_mul_i32 s23, s5, s23
	s_add_u32 s22, s22, s23
	s_addc_u32 s23, 0, s24
	v_add_co_u32_e32 v1, vcc, s22, v1
	s_cmp_lg_u64 vcc, 0
	s_addc_u32 s5, s5, s23
	v_readfirstlane_b32 s23, v1
	s_mul_i32 s22, s3, s5
	s_mul_hi_u32 s24, s3, s23
	s_add_i32 s22, s24, s22
	s_mul_i32 s4, s4, s23
	s_add_i32 s22, s22, s4
	s_mul_i32 s3, s3, s23
	s_mul_hi_u32 s24, s5, s3
	s_mul_i32 s25, s5, s3
	s_mul_i32 s27, s23, s22
	s_mul_hi_u32 s3, s23, s3
	s_mul_hi_u32 s26, s23, s22
	s_add_u32 s3, s3, s27
	s_addc_u32 s23, 0, s26
	s_add_u32 s3, s3, s25
	s_mul_hi_u32 s4, s5, s22
	s_addc_u32 s3, s23, s24
	s_addc_u32 s4, s4, 0
	s_mul_i32 s22, s5, s22
	s_add_u32 s3, s3, s22
	s_addc_u32 s4, 0, s4
	v_add_co_u32_e32 v1, vcc, s3, v1
	s_cmp_lg_u64 vcc, 0
	s_addc_u32 s3, s5, s4
	s_ashr_i32 s22, s7, 31
	s_add_u32 s4, s6, s22
	s_mov_b32 s23, s22
	s_addc_u32 s5, s7, s22
	s_xor_b64 s[24:25], s[4:5], s[22:23]
	v_readfirstlane_b32 s26, v1
	s_mul_i32 s5, s24, s3
	s_mul_hi_u32 s27, s24, s26
	s_mul_hi_u32 s4, s24, s3
	s_add_u32 s5, s27, s5
	s_addc_u32 s4, 0, s4
	s_mul_hi_u32 s28, s25, s26
	s_mul_i32 s26, s25, s26
	s_add_u32 s5, s5, s26
	s_mul_hi_u32 s27, s25, s3
	s_addc_u32 s4, s4, s28
	s_addc_u32 s5, s27, 0
	s_mul_i32 s3, s25, s3
	s_add_u32 s3, s4, s3
	s_addc_u32 s26, 0, s5
	s_mul_i32 s4, s20, s26
	s_mul_hi_u32 s5, s20, s3
	s_add_i32 s4, s5, s4
	s_mul_i32 s5, s21, s3
	s_add_i32 s27, s4, s5
	s_mul_i32 s5, s20, s3
	v_mov_b32_e32 v1, s5
	s_sub_i32 s4, s25, s27
	v_sub_co_u32_e32 v1, vcc, s24, v1
	s_cmp_lg_u64 vcc, 0
	s_subb_u32 s24, s4, s21
	v_subrev_co_u32_e64 v2, s[4:5], s20, v1
	s_cmp_lg_u64 s[4:5], 0
	s_subb_u32 s4, s24, 0
	s_cmp_ge_u32 s4, s21
	v_readfirstlane_b32 s24, v2
	s_cselect_b32 s5, -1, 0
	s_cmp_ge_u32 s24, s20
	s_cselect_b32 s24, -1, 0
	s_cmp_eq_u32 s4, s21
	s_cselect_b32 s4, s24, s5
	s_add_u32 s5, s3, 1
	s_addc_u32 s24, s26, 0
	s_add_u32 s28, s3, 2
	s_addc_u32 s29, s26, 0
	s_cmp_lg_u32 s4, 0
	s_cselect_b32 s4, s28, s5
	s_cselect_b32 s5, s29, s24
	s_cmp_lg_u64 vcc, 0
	s_subb_u32 s24, s25, s27
	s_cmp_ge_u32 s24, s21
	v_readfirstlane_b32 s27, v1
	s_cselect_b32 s25, -1, 0
	s_cmp_ge_u32 s27, s20
	s_cselect_b32 s20, -1, 0
	s_cmp_eq_u32 s24, s21
	s_cselect_b32 s20, s20, s25
	s_cmp_lg_u32 s20, 0
	s_cselect_b32 s5, s5, s26
	s_cselect_b32 s4, s4, s3
	s_xor_b64 s[16:17], s[22:23], s[16:17]
	s_xor_b64 s[4:5], s[4:5], s[16:17]
	s_sub_u32 s16, s4, s16
	s_subb_u32 s17, s5, s17
	s_load_dwordx2 s[4:5], s[0:1], 0x10
	s_cbranch_execnz .LBB23_4
.LBB23_3:
	v_cvt_f32_u32_e32 v1, s14
	s_sub_i32 s3, 0, s14
	s_mov_b32 s17, 0
	v_rcp_iflag_f32_e32 v1, v1
	s_nop 0
	v_mul_f32_e32 v1, 0x4f7ffffe, v1
	v_cvt_u32_f32_e32 v1, v1
	s_nop 0
	v_readfirstlane_b32 s16, v1
	s_mul_i32 s3, s3, s16
	s_mul_hi_u32 s3, s16, s3
	s_add_i32 s16, s16, s3
	s_mul_hi_u32 s3, s6, s16
	s_mul_i32 s18, s3, s14
	s_sub_i32 s18, s6, s18
	s_add_i32 s16, s3, 1
	s_sub_i32 s19, s18, s14
	s_cmp_ge_u32 s18, s14
	s_cselect_b32 s3, s16, s3
	s_cselect_b32 s18, s19, s18
	s_add_i32 s16, s3, 1
	s_cmp_ge_u32 s18, s14
	s_cselect_b32 s16, s16, s3
.LBB23_4:
	s_mul_i32 s3, s16, s15
	s_mul_hi_u32 s15, s16, s14
	s_load_dwordx2 s[20:21], s[0:1], 0x8
	s_load_dwordx2 s[18:19], s[0:1], 0x40
	s_add_i32 s3, s15, s3
	s_mul_i32 s15, s17, s14
	s_add_i32 s15, s3, s15
	s_mul_i32 s3, s16, s14
	s_sub_u32 s3, s6, s3
	s_subb_u32 s28, s7, s15
	v_cmp_gt_i32_e32 vcc, s12, v0
	s_mul_hi_u32 s29, s16, s8
	s_mul_i32 s30, s17, s8
	s_mul_i32 s26, s16, s8
	s_mul_hi_u32 s27, s3, s9
	s_mul_i32 s28, s28, s9
	s_mul_i32 s17, s3, s9
	s_and_saveexec_b64 s[6:7], vcc
	s_cbranch_execz .LBB23_7
; %bb.5:
	s_ashr_i32 s14, s10, 31
	s_mul_hi_u32 s15, s10, s2
	s_mul_i32 s14, s14, s2
	s_add_i32 s15, s15, s14
	s_mul_i32 s14, s10, s2
	s_ashr_i32 s10, s8, 31
	s_mul_i32 s10, s16, s10
	s_add_i32 s10, s29, s10
	s_load_dwordx2 s[22:23], s[0:1], 0x0
	s_load_dword s31, s[0:1], 0x54
	s_add_i32 s24, s10, s30
	s_ashr_i32 s10, s9, 31
	s_mul_i32 s10, s3, s10
	s_add_i32 s10, s27, s10
	s_add_i32 s25, s10, s28
	s_lshl_b64 s[14:15], s[14:15], 1
	s_waitcnt lgkmcnt(0)
	s_add_u32 s14, s22, s14
	s_addc_u32 s15, s23, s15
	s_load_dword s10, s[18:19], 0x0
	s_add_u32 s22, s4, s26
	s_addc_u32 s23, s5, s24
	s_add_u32 s22, s22, s17
	s_addc_u32 s23, s23, s25
	s_and_b32 s31, s31, 0xffff
	s_mov_b64 s[24:25], 0
	s_mov_b32 s33, 0x7f800000
	s_mov_b32 s34, 0x43700000
	v_mov_b32_e32 v1, 0xc3700000
	v_mov_b32_e32 v2, v0
.LBB23_6:                               ; =>This Inner Loop Header: Depth=1
	v_ashrrev_i32_e32 v3, 31, v2
	v_lshl_add_u64 v[4:5], v[2:3], 1, s[14:15]
	global_load_ushort v4, v[4:5], off
	s_waitcnt vmcnt(0)
	v_cvt_f32_f16_e32 v4, v4
	s_waitcnt lgkmcnt(0)
	v_div_scale_f32 v5, s[36:37], s10, s10, v4
	v_rcp_f32_e32 v6, v5
	v_div_scale_f32 v7, vcc, v4, s10, v4
	v_fma_f32 v8, -v5, v6, 1.0
	v_fmac_f32_e32 v6, v8, v6
	v_mul_f32_e32 v8, v7, v6
	v_fma_f32 v9, -v5, v8, v7
	v_fmac_f32_e32 v8, v9, v6
	v_fma_f32 v5, -v5, v8, v7
	v_div_fmas_f32 v5, v5, v6, v8
	v_div_fixup_f32 v4, v5, s10, v4
	v_cvt_f16_f32_e32 v4, v4
	v_mov_b32_e32 v6, 0
	v_cvt_f32_f16_e32 v4, v4
	v_med3_f32 v5, v4, s34, v1
	v_cmp_nlg_f32_e64 vcc, |v4|, s33
	s_nop 1
	v_cndmask_b32_e32 v4, v5, v4, vcc
	v_cvt_pk_fp8_f32 v6, v4, v4
	v_lshl_add_u64 v[4:5], s[22:23], 0, v[2:3]
	v_add_u32_e32 v2, s31, v2
	v_cmp_le_i32_e32 vcc, s12, v2
	s_or_b64 s[24:25], vcc, s[24:25]
	global_store_byte v[4:5], v6, off
	s_andn2_b64 exec, exec, s[24:25]
	s_cbranch_execnz .LBB23_6
.LBB23_7:
	s_or_b64 exec, exec, s[6:7]
	v_cmp_gt_i32_e32 vcc, s13, v0
	s_and_saveexec_b64 s[6:7], vcc
	s_cbranch_execz .LBB23_10
; %bb.8:
	s_ashr_i32 s6, s11, 31
	s_mul_hi_u32 s7, s11, s2
	s_mul_i32 s6, s6, s2
	s_add_i32 s7, s7, s6
	s_mul_i32 s6, s11, s2
	s_ashr_i32 s2, s8, 31
	s_mul_i32 s2, s16, s2
	s_add_i32 s2, s29, s2
	s_add_i32 s8, s2, s30
	s_ashr_i32 s2, s9, 31
	s_mul_i32 s3, s3, s2
	s_add_i32 s2, s27, s3
	s_add_i32 s9, s2, s28
	s_ashr_i32 s10, s12, 31
	s_lshl_b64 s[2:3], s[6:7], 1
	s_waitcnt lgkmcnt(0)
	s_add_u32 s2, s20, s2
	s_addc_u32 s3, s21, s3
	s_add_u32 s4, s4, s26
	s_load_dword s7, s[0:1], 0x54
	s_load_dword s6, s[18:19], 0x0
	s_addc_u32 s5, s5, s8
	s_add_u32 s0, s4, s17
	s_addc_u32 s1, s5, s9
	s_add_u32 s0, s0, s12
	s_addc_u32 s1, s1, s10
	s_waitcnt lgkmcnt(0)
	s_and_b32 s7, s7, 0xffff
	s_mov_b64 s[4:5], 0
	s_mov_b32 s8, 0x7f800000
	s_mov_b32 s9, 0x43700000
	v_mov_b32_e32 v2, 0xc3700000
.LBB23_9:                               ; =>This Inner Loop Header: Depth=1
	v_ashrrev_i32_e32 v1, 31, v0
	v_lshl_add_u64 v[4:5], v[0:1], 1, s[2:3]
	global_load_ushort v3, v[4:5], off
	s_waitcnt vmcnt(0)
	v_cvt_f32_f16_e32 v3, v3
	v_div_scale_f32 v4, s[10:11], s6, s6, v3
	v_rcp_f32_e32 v5, v4
	v_div_scale_f32 v6, vcc, v3, s6, v3
	v_fma_f32 v7, -v4, v5, 1.0
	v_fmac_f32_e32 v5, v7, v5
	v_mul_f32_e32 v7, v6, v5
	v_fma_f32 v8, -v4, v7, v6
	v_fmac_f32_e32 v7, v8, v5
	v_fma_f32 v4, -v4, v7, v6
	v_div_fmas_f32 v4, v4, v5, v7
	v_div_fixup_f32 v3, v4, s6, v3
	v_cvt_f16_f32_e32 v3, v3
	v_mov_b32_e32 v6, 0
	v_cvt_f32_f16_e32 v3, v3
	v_med3_f32 v4, v3, s9, v2
	v_cmp_nlg_f32_e64 vcc, |v3|, s8
	s_nop 1
	v_cndmask_b32_e32 v3, v4, v3, vcc
	v_cvt_pk_fp8_f32 v6, v3, v3
	v_lshl_add_u64 v[4:5], s[0:1], 0, v[0:1]
	v_add_u32_e32 v0, s7, v0
	v_cmp_le_i32_e32 vcc, s13, v0
	s_or_b64 s[4:5], vcc, s[4:5]
	global_store_byte v[4:5], v6, off
	s_andn2_b64 exec, exec, s[4:5]
	s_cbranch_execnz .LBB23_9
.LBB23_10:
	s_endpgm
.LBB23_11:
                                        ; implicit-def: $sgpr16_sgpr17
	s_load_dwordx2 s[4:5], s[0:1], 0x10
	s_branch .LBB23_3
	.section	.rodata,"a",@progbits
	.p2align	6, 0x0
	.amdhsa_kernel _ZN4vllm27concat_and_cache_mla_kernelIthLNS_18Fp8KVCacheDataTypeE1EEEvPKT_S4_PT0_PKliiiiiiiPKf
		.amdhsa_group_segment_fixed_size 0
		.amdhsa_private_segment_fixed_size 0
		.amdhsa_kernarg_size 328
		.amdhsa_user_sgpr_count 2
		.amdhsa_user_sgpr_dispatch_ptr 0
		.amdhsa_user_sgpr_queue_ptr 0
		.amdhsa_user_sgpr_kernarg_segment_ptr 1
		.amdhsa_user_sgpr_dispatch_id 0
		.amdhsa_user_sgpr_kernarg_preload_length 0
		.amdhsa_user_sgpr_kernarg_preload_offset 0
		.amdhsa_user_sgpr_private_segment_size 0
		.amdhsa_uses_dynamic_stack 0
		.amdhsa_enable_private_segment 0
		.amdhsa_system_sgpr_workgroup_id_x 1
		.amdhsa_system_sgpr_workgroup_id_y 0
		.amdhsa_system_sgpr_workgroup_id_z 0
		.amdhsa_system_sgpr_workgroup_info 0
		.amdhsa_system_vgpr_workitem_id 0
		.amdhsa_next_free_vgpr 10
		.amdhsa_next_free_sgpr 38
		.amdhsa_accum_offset 12
		.amdhsa_reserve_vcc 1
		.amdhsa_float_round_mode_32 0
		.amdhsa_float_round_mode_16_64 0
		.amdhsa_float_denorm_mode_32 3
		.amdhsa_float_denorm_mode_16_64 3
		.amdhsa_dx10_clamp 1
		.amdhsa_ieee_mode 1
		.amdhsa_fp16_overflow 0
		.amdhsa_tg_split 0
		.amdhsa_exception_fp_ieee_invalid_op 0
		.amdhsa_exception_fp_denorm_src 0
		.amdhsa_exception_fp_ieee_div_zero 0
		.amdhsa_exception_fp_ieee_overflow 0
		.amdhsa_exception_fp_ieee_underflow 0
		.amdhsa_exception_fp_ieee_inexact 0
		.amdhsa_exception_int_div_zero 0
	.end_amdhsa_kernel
	.section	.text._ZN4vllm27concat_and_cache_mla_kernelIthLNS_18Fp8KVCacheDataTypeE1EEEvPKT_S4_PT0_PKliiiiiiiPKf,"axG",@progbits,_ZN4vllm27concat_and_cache_mla_kernelIthLNS_18Fp8KVCacheDataTypeE1EEEvPKT_S4_PT0_PKliiiiiiiPKf,comdat
.Lfunc_end23:
	.size	_ZN4vllm27concat_and_cache_mla_kernelIthLNS_18Fp8KVCacheDataTypeE1EEEvPKT_S4_PT0_PKliiiiiiiPKf, .Lfunc_end23-_ZN4vllm27concat_and_cache_mla_kernelIthLNS_18Fp8KVCacheDataTypeE1EEEvPKT_S4_PT0_PKliiiiiiiPKf
                                        ; -- End function
	.section	.AMDGPU.csdata,"",@progbits
; Kernel info:
; codeLenInByte = 1520
; NumSgprs: 44
; NumVgprs: 10
; NumAgprs: 0
; TotalNumVgprs: 10
; ScratchSize: 0
; MemoryBound: 0
; FloatMode: 240
; IeeeMode: 1
; LDSByteSize: 0 bytes/workgroup (compile time only)
; SGPRBlocks: 5
; VGPRBlocks: 1
; NumSGPRsForWavesPerEU: 44
; NumVGPRsForWavesPerEU: 10
; AccumOffset: 12
; Occupancy: 8
; WaveLimiterHint : 0
; COMPUTE_PGM_RSRC2:SCRATCH_EN: 0
; COMPUTE_PGM_RSRC2:USER_SGPR: 2
; COMPUTE_PGM_RSRC2:TRAP_HANDLER: 0
; COMPUTE_PGM_RSRC2:TGID_X_EN: 1
; COMPUTE_PGM_RSRC2:TGID_Y_EN: 0
; COMPUTE_PGM_RSRC2:TGID_Z_EN: 0
; COMPUTE_PGM_RSRC2:TIDIG_COMP_CNT: 0
; COMPUTE_PGM_RSRC3_GFX90A:ACCUM_OFFSET: 2
; COMPUTE_PGM_RSRC3_GFX90A:TG_SPLIT: 0
	.section	.text._ZN4vllm27concat_and_cache_mla_kernelI14__hip_bfloat16hLNS_18Fp8KVCacheDataTypeE1EEEvPKT_S5_PT0_PKliiiiiiiPKf,"axG",@progbits,_ZN4vllm27concat_and_cache_mla_kernelI14__hip_bfloat16hLNS_18Fp8KVCacheDataTypeE1EEEvPKT_S5_PT0_PKliiiiiiiPKf,comdat
	.protected	_ZN4vllm27concat_and_cache_mla_kernelI14__hip_bfloat16hLNS_18Fp8KVCacheDataTypeE1EEEvPKT_S5_PT0_PKliiiiiiiPKf ; -- Begin function _ZN4vllm27concat_and_cache_mla_kernelI14__hip_bfloat16hLNS_18Fp8KVCacheDataTypeE1EEEvPKT_S5_PT0_PKliiiiiiiPKf
	.globl	_ZN4vllm27concat_and_cache_mla_kernelI14__hip_bfloat16hLNS_18Fp8KVCacheDataTypeE1EEEvPKT_S5_PT0_PKliiiiiiiPKf
	.p2align	8
	.type	_ZN4vllm27concat_and_cache_mla_kernelI14__hip_bfloat16hLNS_18Fp8KVCacheDataTypeE1EEEvPKT_S5_PT0_PKliiiiiiiPKf,@function
_ZN4vllm27concat_and_cache_mla_kernelI14__hip_bfloat16hLNS_18Fp8KVCacheDataTypeE1EEEvPKT_S5_PT0_PKliiiiiiiPKf: ; @_ZN4vllm27concat_and_cache_mla_kernelI14__hip_bfloat16hLNS_18Fp8KVCacheDataTypeE1EEEvPKT_S5_PT0_PKliiiiiiiPKf
; %bb.0:
	s_load_dwordx2 s[4:5], s[0:1], 0x18
	s_mov_b32 s3, 0
	s_lshl_b64 s[6:7], s[2:3], 3
	s_waitcnt lgkmcnt(0)
	s_add_u32 s4, s4, s6
	s_addc_u32 s5, s5, s7
	s_load_dwordx2 s[6:7], s[4:5], 0x0
	s_waitcnt lgkmcnt(0)
	v_cmp_lt_i64_e64 s[4:5], s[6:7], 0
	s_and_b64 vcc, exec, s[4:5]
	s_cbranch_vccnz .LBB24_10
; %bb.1:
	s_load_dwordx8 s[8:15], s[0:1], 0x20
	s_waitcnt lgkmcnt(0)
	s_ashr_i32 s15, s14, 31
	s_or_b64 s[4:5], s[6:7], s[14:15]
	s_mov_b32 s4, s3
	s_cmp_lg_u64 s[4:5], 0
	s_cbranch_scc0 .LBB24_11
; %bb.2:
	s_add_u32 s4, s14, s15
	s_mov_b32 s16, s15
	s_mov_b32 s17, s15
	s_addc_u32 s5, s15, s15
	s_xor_b64 s[20:21], s[4:5], s[16:17]
	v_cvt_f32_u32_e32 v1, s20
	v_cvt_f32_u32_e32 v2, s21
	s_sub_u32 s3, 0, s20
	s_subb_u32 s4, 0, s21
	v_fmamk_f32 v1, v2, 0x4f800000, v1
	v_rcp_f32_e32 v1, v1
	s_nop 0
	v_mul_f32_e32 v1, 0x5f7ffffc, v1
	v_mul_f32_e32 v2, 0x2f800000, v1
	v_trunc_f32_e32 v2, v2
	v_fmamk_f32 v1, v2, 0xcf800000, v1
	v_cvt_u32_f32_e32 v2, v2
	v_cvt_u32_f32_e32 v1, v1
	v_readfirstlane_b32 s5, v2
	v_readfirstlane_b32 s22, v1
	s_mul_i32 s23, s3, s5
	s_mul_hi_u32 s25, s3, s22
	s_mul_i32 s24, s4, s22
	s_add_i32 s23, s25, s23
	s_add_i32 s23, s23, s24
	s_mul_i32 s26, s3, s22
	s_mul_hi_u32 s24, s22, s23
	s_mul_i32 s25, s22, s23
	s_mul_hi_u32 s22, s22, s26
	s_add_u32 s22, s22, s25
	s_addc_u32 s24, 0, s24
	s_mul_hi_u32 s27, s5, s26
	s_mul_i32 s26, s5, s26
	s_add_u32 s22, s22, s26
	s_mul_hi_u32 s25, s5, s23
	s_addc_u32 s22, s24, s27
	s_addc_u32 s24, s25, 0
	s_mul_i32 s23, s5, s23
	s_add_u32 s22, s22, s23
	s_addc_u32 s23, 0, s24
	v_add_co_u32_e32 v1, vcc, s22, v1
	s_cmp_lg_u64 vcc, 0
	s_addc_u32 s5, s5, s23
	v_readfirstlane_b32 s23, v1
	s_mul_i32 s22, s3, s5
	s_mul_hi_u32 s24, s3, s23
	s_add_i32 s22, s24, s22
	s_mul_i32 s4, s4, s23
	s_add_i32 s22, s22, s4
	s_mul_i32 s3, s3, s23
	s_mul_hi_u32 s24, s5, s3
	s_mul_i32 s25, s5, s3
	s_mul_i32 s27, s23, s22
	s_mul_hi_u32 s3, s23, s3
	s_mul_hi_u32 s26, s23, s22
	s_add_u32 s3, s3, s27
	s_addc_u32 s23, 0, s26
	s_add_u32 s3, s3, s25
	s_mul_hi_u32 s4, s5, s22
	s_addc_u32 s3, s23, s24
	s_addc_u32 s4, s4, 0
	s_mul_i32 s22, s5, s22
	s_add_u32 s3, s3, s22
	s_addc_u32 s4, 0, s4
	v_add_co_u32_e32 v1, vcc, s3, v1
	s_cmp_lg_u64 vcc, 0
	s_addc_u32 s3, s5, s4
	s_ashr_i32 s22, s7, 31
	s_add_u32 s4, s6, s22
	s_mov_b32 s23, s22
	s_addc_u32 s5, s7, s22
	s_xor_b64 s[24:25], s[4:5], s[22:23]
	v_readfirstlane_b32 s26, v1
	s_mul_i32 s5, s24, s3
	s_mul_hi_u32 s27, s24, s26
	s_mul_hi_u32 s4, s24, s3
	s_add_u32 s5, s27, s5
	s_addc_u32 s4, 0, s4
	s_mul_hi_u32 s28, s25, s26
	s_mul_i32 s26, s25, s26
	s_add_u32 s5, s5, s26
	s_mul_hi_u32 s27, s25, s3
	s_addc_u32 s4, s4, s28
	s_addc_u32 s5, s27, 0
	s_mul_i32 s3, s25, s3
	s_add_u32 s3, s4, s3
	s_addc_u32 s26, 0, s5
	s_mul_i32 s4, s20, s26
	s_mul_hi_u32 s5, s20, s3
	s_add_i32 s4, s5, s4
	s_mul_i32 s5, s21, s3
	s_add_i32 s27, s4, s5
	s_mul_i32 s5, s20, s3
	v_mov_b32_e32 v1, s5
	s_sub_i32 s4, s25, s27
	v_sub_co_u32_e32 v1, vcc, s24, v1
	s_cmp_lg_u64 vcc, 0
	s_subb_u32 s24, s4, s21
	v_subrev_co_u32_e64 v2, s[4:5], s20, v1
	s_cmp_lg_u64 s[4:5], 0
	s_subb_u32 s4, s24, 0
	s_cmp_ge_u32 s4, s21
	v_readfirstlane_b32 s24, v2
	s_cselect_b32 s5, -1, 0
	s_cmp_ge_u32 s24, s20
	s_cselect_b32 s24, -1, 0
	s_cmp_eq_u32 s4, s21
	s_cselect_b32 s4, s24, s5
	s_add_u32 s5, s3, 1
	s_addc_u32 s24, s26, 0
	s_add_u32 s28, s3, 2
	s_addc_u32 s29, s26, 0
	s_cmp_lg_u32 s4, 0
	s_cselect_b32 s4, s28, s5
	s_cselect_b32 s5, s29, s24
	s_cmp_lg_u64 vcc, 0
	s_subb_u32 s24, s25, s27
	s_cmp_ge_u32 s24, s21
	v_readfirstlane_b32 s27, v1
	s_cselect_b32 s25, -1, 0
	s_cmp_ge_u32 s27, s20
	s_cselect_b32 s20, -1, 0
	s_cmp_eq_u32 s24, s21
	s_cselect_b32 s20, s20, s25
	s_cmp_lg_u32 s20, 0
	s_cselect_b32 s5, s5, s26
	s_cselect_b32 s4, s4, s3
	s_xor_b64 s[16:17], s[22:23], s[16:17]
	s_xor_b64 s[4:5], s[4:5], s[16:17]
	s_sub_u32 s16, s4, s16
	s_subb_u32 s17, s5, s17
	s_load_dwordx2 s[4:5], s[0:1], 0x10
	s_cbranch_execnz .LBB24_4
.LBB24_3:
	v_cvt_f32_u32_e32 v1, s14
	s_sub_i32 s3, 0, s14
	s_mov_b32 s17, 0
	v_rcp_iflag_f32_e32 v1, v1
	s_nop 0
	v_mul_f32_e32 v1, 0x4f7ffffe, v1
	v_cvt_u32_f32_e32 v1, v1
	s_nop 0
	v_readfirstlane_b32 s16, v1
	s_mul_i32 s3, s3, s16
	s_mul_hi_u32 s3, s16, s3
	s_add_i32 s16, s16, s3
	s_mul_hi_u32 s3, s6, s16
	s_mul_i32 s18, s3, s14
	s_sub_i32 s18, s6, s18
	s_add_i32 s16, s3, 1
	s_sub_i32 s19, s18, s14
	s_cmp_ge_u32 s18, s14
	s_cselect_b32 s3, s16, s3
	s_cselect_b32 s18, s19, s18
	s_add_i32 s16, s3, 1
	s_cmp_ge_u32 s18, s14
	s_cselect_b32 s16, s16, s3
.LBB24_4:
	s_mul_i32 s3, s16, s15
	s_mul_hi_u32 s15, s16, s14
	s_load_dwordx2 s[20:21], s[0:1], 0x8
	s_load_dwordx2 s[18:19], s[0:1], 0x40
	s_add_i32 s3, s15, s3
	s_mul_i32 s15, s17, s14
	s_add_i32 s15, s3, s15
	s_mul_i32 s3, s16, s14
	s_sub_u32 s3, s6, s3
	s_subb_u32 s28, s7, s15
	v_cmp_gt_i32_e32 vcc, s12, v0
	s_mul_hi_u32 s29, s16, s8
	s_mul_i32 s30, s17, s8
	s_mul_i32 s26, s16, s8
	s_mul_hi_u32 s27, s3, s9
	s_mul_i32 s28, s28, s9
	s_mul_i32 s17, s3, s9
	s_and_saveexec_b64 s[6:7], vcc
	s_cbranch_execz .LBB24_7
; %bb.5:
	s_ashr_i32 s14, s10, 31
	s_mul_hi_u32 s15, s10, s2
	s_mul_i32 s14, s14, s2
	s_add_i32 s15, s15, s14
	s_mul_i32 s14, s10, s2
	s_ashr_i32 s10, s8, 31
	s_mul_i32 s10, s16, s10
	s_add_i32 s10, s29, s10
	s_load_dwordx2 s[22:23], s[0:1], 0x0
	s_load_dword s31, s[0:1], 0x54
	s_add_i32 s24, s10, s30
	s_ashr_i32 s10, s9, 31
	s_mul_i32 s10, s3, s10
	s_add_i32 s10, s27, s10
	s_add_i32 s25, s10, s28
	s_lshl_b64 s[14:15], s[14:15], 1
	s_waitcnt lgkmcnt(0)
	s_add_u32 s14, s22, s14
	s_addc_u32 s15, s23, s15
	s_load_dword s10, s[18:19], 0x0
	s_add_u32 s22, s4, s26
	s_addc_u32 s23, s5, s24
	s_add_u32 s22, s22, s17
	s_addc_u32 s23, s23, s25
	s_and_b32 s31, s31, 0xffff
	s_mov_b64 s[24:25], 0
	s_mov_b32 s33, 0x7f800000
	s_mov_b32 s34, 0x43700000
	v_mov_b32_e32 v1, 0xc3700000
	v_mov_b32_e32 v2, v0
.LBB24_6:                               ; =>This Inner Loop Header: Depth=1
	v_ashrrev_i32_e32 v3, 31, v2
	v_lshl_add_u64 v[4:5], v[2:3], 1, s[14:15]
	global_load_ushort v4, v[4:5], off
	v_mov_b32_e32 v7, 0
	s_waitcnt vmcnt(0)
	v_lshlrev_b32_e32 v4, 16, v4
	s_waitcnt lgkmcnt(0)
	v_div_scale_f32 v5, s[36:37], s10, s10, v4
	v_rcp_f32_e32 v6, v5
	v_div_scale_f32 v8, vcc, v4, s10, v4
	v_fma_f32 v9, -v5, v6, 1.0
	v_fmac_f32_e32 v6, v9, v6
	v_mul_f32_e32 v9, v8, v6
	v_fma_f32 v10, -v5, v9, v8
	v_fmac_f32_e32 v9, v10, v6
	v_fma_f32 v5, -v5, v9, v8
	v_div_fmas_f32 v5, v5, v6, v9
	v_div_fixup_f32 v4, v5, s10, v4
	v_med3_f32 v5, v4, s34, v1
	v_cmp_nlg_f32_e64 vcc, |v4|, s33
	s_nop 1
	v_cndmask_b32_e32 v4, v5, v4, vcc
	v_cvt_pk_fp8_f32 v7, v4, v4
	v_lshl_add_u64 v[4:5], s[22:23], 0, v[2:3]
	v_add_u32_e32 v2, s31, v2
	v_cmp_le_i32_e32 vcc, s12, v2
	s_or_b64 s[24:25], vcc, s[24:25]
	global_store_byte v[4:5], v7, off
	s_andn2_b64 exec, exec, s[24:25]
	s_cbranch_execnz .LBB24_6
.LBB24_7:
	s_or_b64 exec, exec, s[6:7]
	v_cmp_gt_i32_e32 vcc, s13, v0
	s_and_saveexec_b64 s[6:7], vcc
	s_cbranch_execz .LBB24_10
; %bb.8:
	s_ashr_i32 s6, s11, 31
	s_mul_hi_u32 s7, s11, s2
	s_mul_i32 s6, s6, s2
	s_add_i32 s7, s7, s6
	s_mul_i32 s6, s11, s2
	s_ashr_i32 s2, s8, 31
	s_mul_i32 s2, s16, s2
	s_add_i32 s2, s29, s2
	s_add_i32 s8, s2, s30
	s_ashr_i32 s2, s9, 31
	s_mul_i32 s3, s3, s2
	s_add_i32 s2, s27, s3
	s_add_i32 s9, s2, s28
	s_ashr_i32 s10, s12, 31
	s_lshl_b64 s[2:3], s[6:7], 1
	s_waitcnt lgkmcnt(0)
	s_add_u32 s2, s20, s2
	s_addc_u32 s3, s21, s3
	s_add_u32 s4, s4, s26
	s_load_dword s7, s[0:1], 0x54
	s_load_dword s6, s[18:19], 0x0
	s_addc_u32 s5, s5, s8
	s_add_u32 s0, s4, s17
	s_addc_u32 s1, s5, s9
	s_add_u32 s0, s0, s12
	s_addc_u32 s1, s1, s10
	s_waitcnt lgkmcnt(0)
	s_and_b32 s7, s7, 0xffff
	s_mov_b64 s[4:5], 0
	s_mov_b32 s8, 0x7f800000
	s_mov_b32 s9, 0x43700000
	v_mov_b32_e32 v2, 0xc3700000
.LBB24_9:                               ; =>This Inner Loop Header: Depth=1
	v_ashrrev_i32_e32 v1, 31, v0
	v_lshl_add_u64 v[4:5], v[0:1], 1, s[2:3]
	global_load_ushort v3, v[4:5], off
	v_mov_b32_e32 v6, 0
	s_waitcnt vmcnt(0)
	v_lshlrev_b32_e32 v3, 16, v3
	v_div_scale_f32 v4, s[10:11], s6, s6, v3
	v_rcp_f32_e32 v5, v4
	v_div_scale_f32 v7, vcc, v3, s6, v3
	v_fma_f32 v8, -v4, v5, 1.0
	v_fmac_f32_e32 v5, v8, v5
	v_mul_f32_e32 v8, v7, v5
	v_fma_f32 v9, -v4, v8, v7
	v_fmac_f32_e32 v8, v9, v5
	v_fma_f32 v4, -v4, v8, v7
	v_div_fmas_f32 v4, v4, v5, v8
	v_div_fixup_f32 v3, v4, s6, v3
	v_med3_f32 v4, v3, s9, v2
	v_cmp_nlg_f32_e64 vcc, |v3|, s8
	s_nop 1
	v_cndmask_b32_e32 v3, v4, v3, vcc
	v_cvt_pk_fp8_f32 v6, v3, v3
	v_lshl_add_u64 v[4:5], s[0:1], 0, v[0:1]
	v_add_u32_e32 v0, s7, v0
	v_cmp_le_i32_e32 vcc, s13, v0
	s_or_b64 s[4:5], vcc, s[4:5]
	global_store_byte v[4:5], v6, off
	s_andn2_b64 exec, exec, s[4:5]
	s_cbranch_execnz .LBB24_9
.LBB24_10:
	s_endpgm
.LBB24_11:
                                        ; implicit-def: $sgpr16_sgpr17
	s_load_dwordx2 s[4:5], s[0:1], 0x10
	s_branch .LBB24_3
	.section	.rodata,"a",@progbits
	.p2align	6, 0x0
	.amdhsa_kernel _ZN4vllm27concat_and_cache_mla_kernelI14__hip_bfloat16hLNS_18Fp8KVCacheDataTypeE1EEEvPKT_S5_PT0_PKliiiiiiiPKf
		.amdhsa_group_segment_fixed_size 0
		.amdhsa_private_segment_fixed_size 0
		.amdhsa_kernarg_size 328
		.amdhsa_user_sgpr_count 2
		.amdhsa_user_sgpr_dispatch_ptr 0
		.amdhsa_user_sgpr_queue_ptr 0
		.amdhsa_user_sgpr_kernarg_segment_ptr 1
		.amdhsa_user_sgpr_dispatch_id 0
		.amdhsa_user_sgpr_kernarg_preload_length 0
		.amdhsa_user_sgpr_kernarg_preload_offset 0
		.amdhsa_user_sgpr_private_segment_size 0
		.amdhsa_uses_dynamic_stack 0
		.amdhsa_enable_private_segment 0
		.amdhsa_system_sgpr_workgroup_id_x 1
		.amdhsa_system_sgpr_workgroup_id_y 0
		.amdhsa_system_sgpr_workgroup_id_z 0
		.amdhsa_system_sgpr_workgroup_info 0
		.amdhsa_system_vgpr_workitem_id 0
		.amdhsa_next_free_vgpr 11
		.amdhsa_next_free_sgpr 38
		.amdhsa_accum_offset 12
		.amdhsa_reserve_vcc 1
		.amdhsa_float_round_mode_32 0
		.amdhsa_float_round_mode_16_64 0
		.amdhsa_float_denorm_mode_32 3
		.amdhsa_float_denorm_mode_16_64 3
		.amdhsa_dx10_clamp 1
		.amdhsa_ieee_mode 1
		.amdhsa_fp16_overflow 0
		.amdhsa_tg_split 0
		.amdhsa_exception_fp_ieee_invalid_op 0
		.amdhsa_exception_fp_denorm_src 0
		.amdhsa_exception_fp_ieee_div_zero 0
		.amdhsa_exception_fp_ieee_overflow 0
		.amdhsa_exception_fp_ieee_underflow 0
		.amdhsa_exception_fp_ieee_inexact 0
		.amdhsa_exception_int_div_zero 0
	.end_amdhsa_kernel
	.section	.text._ZN4vllm27concat_and_cache_mla_kernelI14__hip_bfloat16hLNS_18Fp8KVCacheDataTypeE1EEEvPKT_S5_PT0_PKliiiiiiiPKf,"axG",@progbits,_ZN4vllm27concat_and_cache_mla_kernelI14__hip_bfloat16hLNS_18Fp8KVCacheDataTypeE1EEEvPKT_S5_PT0_PKliiiiiiiPKf,comdat
.Lfunc_end24:
	.size	_ZN4vllm27concat_and_cache_mla_kernelI14__hip_bfloat16hLNS_18Fp8KVCacheDataTypeE1EEEvPKT_S5_PT0_PKliiiiiiiPKf, .Lfunc_end24-_ZN4vllm27concat_and_cache_mla_kernelI14__hip_bfloat16hLNS_18Fp8KVCacheDataTypeE1EEEvPKT_S5_PT0_PKliiiiiiiPKf
                                        ; -- End function
	.section	.AMDGPU.csdata,"",@progbits
; Kernel info:
; codeLenInByte = 1504
; NumSgprs: 44
; NumVgprs: 11
; NumAgprs: 0
; TotalNumVgprs: 11
; ScratchSize: 0
; MemoryBound: 0
; FloatMode: 240
; IeeeMode: 1
; LDSByteSize: 0 bytes/workgroup (compile time only)
; SGPRBlocks: 5
; VGPRBlocks: 1
; NumSGPRsForWavesPerEU: 44
; NumVGPRsForWavesPerEU: 11
; AccumOffset: 12
; Occupancy: 8
; WaveLimiterHint : 0
; COMPUTE_PGM_RSRC2:SCRATCH_EN: 0
; COMPUTE_PGM_RSRC2:USER_SGPR: 2
; COMPUTE_PGM_RSRC2:TRAP_HANDLER: 0
; COMPUTE_PGM_RSRC2:TGID_X_EN: 1
; COMPUTE_PGM_RSRC2:TGID_Y_EN: 0
; COMPUTE_PGM_RSRC2:TGID_Z_EN: 0
; COMPUTE_PGM_RSRC2:TIDIG_COMP_CNT: 0
; COMPUTE_PGM_RSRC3_GFX90A:ACCUM_OFFSET: 2
; COMPUTE_PGM_RSRC3_GFX90A:TG_SPLIT: 0
	.text
	.p2align	2                               ; -- Begin function __ockl_fprintf_append_string_n
	.type	__ockl_fprintf_append_string_n,@function
__ockl_fprintf_append_string_n:         ; @__ockl_fprintf_append_string_n
; %bb.0:
	s_waitcnt vmcnt(0) expcnt(0) lgkmcnt(0)
	v_mov_b32_e32 v9, v3
	v_mov_b32_e32 v8, v2
	v_or_b32_e32 v2, 2, v0
	v_cmp_eq_u32_e32 vcc, 0, v6
	s_mov_b32 s18, 0
	s_mov_b64 s[2:3], 0
	v_cndmask_b32_e32 v0, v2, v0, vcc
	v_cmp_ne_u64_e32 vcc, 0, v[8:9]
	v_mbcnt_lo_u32_b32 v2, -1, 0
	s_and_saveexec_b64 s[0:1], vcc
	s_xor_b64 s[4:5], exec, s[0:1]
	s_cbranch_execz .LBB25_86
; %bb.1:
	s_load_dwordx2 s[6:7], s[8:9], 0x50
	v_and_b32_e32 v6, 2, v0
	v_mov_b32_e32 v31, 0
	v_and_b32_e32 v0, -3, v0
	v_mbcnt_hi_u32_b32 v32, -1, v2
	s_movk_i32 s19, 0xff1f
	v_mov_b32_e32 v12, 2
	v_mov_b32_e32 v13, 1
	s_branch .LBB25_3
.LBB25_2:                               ;   in Loop: Header=BB25_3 Depth=1
	s_or_b64 exec, exec, s[12:13]
	v_sub_co_u32_e32 v4, vcc, v4, v34
	v_lshl_add_u64 v[8:9], v[8:9], 0, v[34:35]
	s_nop 0
	v_subb_co_u32_e32 v5, vcc, v5, v35, vcc
	v_cmp_eq_u64_e32 vcc, 0, v[4:5]
	s_or_b64 s[2:3], vcc, s[2:3]
	s_andn2_b64 exec, exec, s[2:3]
	s_cbranch_execz .LBB25_85
.LBB25_3:                               ; =>This Loop Header: Depth=1
                                        ;     Child Loop BB25_6 Depth 2
                                        ;     Child Loop BB25_14 Depth 2
	;; [unrolled: 1-line block ×11, first 2 shown]
	v_cmp_gt_u64_e32 vcc, 56, v[4:5]
                                        ; implicit-def: $vgpr2_vgpr3
                                        ; implicit-def: $sgpr10
	s_nop 1
	v_cndmask_b32_e32 v35, 0, v5, vcc
	v_cndmask_b32_e32 v34, 56, v4, vcc
	v_cmp_gt_u64_e32 vcc, 8, v[4:5]
	s_and_saveexec_b64 s[0:1], vcc
	s_xor_b64 s[0:1], exec, s[0:1]
	s_cbranch_execz .LBB25_9
; %bb.4:                                ;   in Loop: Header=BB25_3 Depth=1
	s_mov_b64 s[12:13], 0
	v_cmp_ne_u64_e32 vcc, 0, v[4:5]
	s_waitcnt vmcnt(0)
	v_mov_b64_e32 v[2:3], 0
	s_and_saveexec_b64 s[10:11], vcc
	s_cbranch_execz .LBB25_8
; %bb.5:                                ;   in Loop: Header=BB25_3 Depth=1
	v_lshlrev_b64 v[10:11], 3, v[34:35]
	v_mov_b64_e32 v[2:3], 0
	v_mov_b64_e32 v[14:15], v[8:9]
	s_mov_b64 s[14:15], 0
.LBB25_6:                               ;   Parent Loop BB25_3 Depth=1
                                        ; =>  This Inner Loop Header: Depth=2
	flat_load_ubyte v7, v[14:15]
	v_mov_b32_e32 v17, s18
	v_lshl_add_u64 v[14:15], v[14:15], 0, 1
	s_waitcnt vmcnt(0) lgkmcnt(0)
	v_and_b32_e32 v16, 0xffff, v7
	v_lshlrev_b64 v[16:17], s14, v[16:17]
	s_add_u32 s14, s14, 8
	s_addc_u32 s15, s15, 0
	v_cmp_eq_u32_e32 vcc, s14, v10
	v_or_b32_e32 v3, v17, v3
	s_or_b64 s[12:13], vcc, s[12:13]
	v_or_b32_e32 v2, v16, v2
	s_andn2_b64 exec, exec, s[12:13]
	s_cbranch_execnz .LBB25_6
; %bb.7:                                ;   in Loop: Header=BB25_3 Depth=1
	s_or_b64 exec, exec, s[12:13]
.LBB25_8:                               ;   in Loop: Header=BB25_3 Depth=1
	s_or_b64 exec, exec, s[10:11]
	s_mov_b32 s10, 0
.LBB25_9:                               ;   in Loop: Header=BB25_3 Depth=1
	s_or_saveexec_b64 s[0:1], s[0:1]
	v_mov_b32_e32 v7, s10
	v_mov_b64_e32 v[10:11], v[8:9]
	s_xor_b64 exec, exec, s[0:1]
	s_cbranch_execz .LBB25_11
; %bb.10:                               ;   in Loop: Header=BB25_3 Depth=1
	s_waitcnt vmcnt(0)
	flat_load_dwordx2 v[2:3], v[8:9]
	v_add_u32_e32 v7, -8, v34
	s_waitcnt vmcnt(0) lgkmcnt(0)
	v_and_b32_e32 v10, 0xff, v3
	v_and_b32_e32 v11, 0xff00, v3
	;; [unrolled: 1-line block ×4, first 2 shown]
	v_or_b32_e32 v10, v10, v11
	v_or3_b32 v2, v2, 0, 0
	v_or3_b32 v3, v10, v14, v3
	v_lshl_add_u64 v[10:11], v[8:9], 0, 8
.LBB25_11:                              ;   in Loop: Header=BB25_3 Depth=1
	s_or_b64 exec, exec, s[0:1]
	v_cmp_gt_u32_e32 vcc, 8, v7
                                        ; implicit-def: $vgpr14_vgpr15
                                        ; implicit-def: $sgpr10
	s_and_saveexec_b64 s[0:1], vcc
	s_xor_b64 s[0:1], exec, s[0:1]
	s_cbranch_execz .LBB25_17
; %bb.12:                               ;   in Loop: Header=BB25_3 Depth=1
	v_cmp_ne_u32_e32 vcc, 0, v7
	v_mov_b64_e32 v[14:15], 0
	s_and_saveexec_b64 s[10:11], vcc
	s_cbranch_execz .LBB25_16
; %bb.13:                               ;   in Loop: Header=BB25_3 Depth=1
	s_mov_b64 s[12:13], 0
	v_mov_b64_e32 v[14:15], 0
	s_mov_b64 s[14:15], 0
	s_mov_b64 s[16:17], 0
.LBB25_14:                              ;   Parent Loop BB25_3 Depth=1
                                        ; =>  This Inner Loop Header: Depth=2
	v_lshl_add_u64 v[16:17], v[10:11], 0, s[16:17]
	flat_load_ubyte v16, v[16:17]
	s_add_u32 s16, s16, 1
	v_mov_b32_e32 v17, s18
	s_addc_u32 s17, s17, 0
	v_cmp_eq_u32_e32 vcc, s16, v7
	s_waitcnt vmcnt(0) lgkmcnt(0)
	v_and_b32_e32 v16, 0xffff, v16
	v_lshlrev_b64 v[16:17], s14, v[16:17]
	s_add_u32 s14, s14, 8
	s_addc_u32 s15, s15, 0
	v_or_b32_e32 v15, v17, v15
	s_or_b64 s[12:13], vcc, s[12:13]
	v_or_b32_e32 v14, v16, v14
	s_andn2_b64 exec, exec, s[12:13]
	s_cbranch_execnz .LBB25_14
; %bb.15:                               ;   in Loop: Header=BB25_3 Depth=1
	s_or_b64 exec, exec, s[12:13]
.LBB25_16:                              ;   in Loop: Header=BB25_3 Depth=1
	s_or_b64 exec, exec, s[10:11]
	s_mov_b32 s10, 0
                                        ; implicit-def: $vgpr7
.LBB25_17:                              ;   in Loop: Header=BB25_3 Depth=1
	s_or_saveexec_b64 s[0:1], s[0:1]
	v_mov_b32_e32 v18, s10
	s_xor_b64 exec, exec, s[0:1]
	s_cbranch_execz .LBB25_19
; %bb.18:                               ;   in Loop: Header=BB25_3 Depth=1
	flat_load_dwordx2 v[14:15], v[10:11]
	v_add_u32_e32 v18, -8, v7
	v_lshl_add_u64 v[10:11], v[10:11], 0, 8
	s_waitcnt vmcnt(0) lgkmcnt(0)
	v_and_b32_e32 v7, 0xff, v15
	v_and_b32_e32 v16, 0xff00, v15
	;; [unrolled: 1-line block ×4, first 2 shown]
	v_or_b32_e32 v7, v7, v16
	v_or3_b32 v14, v14, 0, 0
	v_or3_b32 v15, v7, v17, v15
.LBB25_19:                              ;   in Loop: Header=BB25_3 Depth=1
	s_or_b64 exec, exec, s[0:1]
	v_cmp_gt_u32_e32 vcc, 8, v18
                                        ; implicit-def: $sgpr10
	s_and_saveexec_b64 s[0:1], vcc
	s_xor_b64 s[0:1], exec, s[0:1]
	s_cbranch_execz .LBB25_25
; %bb.20:                               ;   in Loop: Header=BB25_3 Depth=1
	v_cmp_ne_u32_e32 vcc, 0, v18
	v_mov_b64_e32 v[16:17], 0
	s_and_saveexec_b64 s[10:11], vcc
	s_cbranch_execz .LBB25_24
; %bb.21:                               ;   in Loop: Header=BB25_3 Depth=1
	s_mov_b64 s[12:13], 0
	v_mov_b64_e32 v[16:17], 0
	s_mov_b64 s[14:15], 0
	s_mov_b64 s[16:17], 0
.LBB25_22:                              ;   Parent Loop BB25_3 Depth=1
                                        ; =>  This Inner Loop Header: Depth=2
	v_lshl_add_u64 v[20:21], v[10:11], 0, s[16:17]
	flat_load_ubyte v7, v[20:21]
	s_add_u32 s16, s16, 1
	v_mov_b32_e32 v21, s18
	s_addc_u32 s17, s17, 0
	v_cmp_eq_u32_e32 vcc, s16, v18
	s_waitcnt vmcnt(0) lgkmcnt(0)
	v_and_b32_e32 v20, 0xffff, v7
	v_lshlrev_b64 v[20:21], s14, v[20:21]
	s_add_u32 s14, s14, 8
	s_addc_u32 s15, s15, 0
	v_or_b32_e32 v17, v21, v17
	s_or_b64 s[12:13], vcc, s[12:13]
	v_or_b32_e32 v16, v20, v16
	s_andn2_b64 exec, exec, s[12:13]
	s_cbranch_execnz .LBB25_22
; %bb.23:                               ;   in Loop: Header=BB25_3 Depth=1
	s_or_b64 exec, exec, s[12:13]
.LBB25_24:                              ;   in Loop: Header=BB25_3 Depth=1
	s_or_b64 exec, exec, s[10:11]
	s_mov_b32 s10, 0
                                        ; implicit-def: $vgpr18
.LBB25_25:                              ;   in Loop: Header=BB25_3 Depth=1
	s_or_saveexec_b64 s[0:1], s[0:1]
	v_mov_b32_e32 v7, s10
	s_xor_b64 exec, exec, s[0:1]
	s_cbranch_execz .LBB25_27
; %bb.26:                               ;   in Loop: Header=BB25_3 Depth=1
	flat_load_dwordx2 v[16:17], v[10:11]
	v_add_u32_e32 v7, -8, v18
	v_lshl_add_u64 v[10:11], v[10:11], 0, 8
	s_waitcnt vmcnt(0) lgkmcnt(0)
	v_and_b32_e32 v18, 0xff, v17
	v_and_b32_e32 v19, 0xff00, v17
	;; [unrolled: 1-line block ×4, first 2 shown]
	v_or_b32_e32 v18, v18, v19
	v_or3_b32 v16, v16, 0, 0
	v_or3_b32 v17, v18, v20, v17
.LBB25_27:                              ;   in Loop: Header=BB25_3 Depth=1
	s_or_b64 exec, exec, s[0:1]
	v_cmp_gt_u32_e32 vcc, 8, v7
                                        ; implicit-def: $vgpr18_vgpr19
                                        ; implicit-def: $sgpr10
	s_and_saveexec_b64 s[0:1], vcc
	s_xor_b64 s[0:1], exec, s[0:1]
	s_cbranch_execz .LBB25_33
; %bb.28:                               ;   in Loop: Header=BB25_3 Depth=1
	v_cmp_ne_u32_e32 vcc, 0, v7
	v_mov_b64_e32 v[18:19], 0
	s_and_saveexec_b64 s[10:11], vcc
	s_cbranch_execz .LBB25_32
; %bb.29:                               ;   in Loop: Header=BB25_3 Depth=1
	s_mov_b64 s[12:13], 0
	v_mov_b64_e32 v[18:19], 0
	s_mov_b64 s[14:15], 0
	s_mov_b64 s[16:17], 0
.LBB25_30:                              ;   Parent Loop BB25_3 Depth=1
                                        ; =>  This Inner Loop Header: Depth=2
	v_lshl_add_u64 v[20:21], v[10:11], 0, s[16:17]
	flat_load_ubyte v20, v[20:21]
	s_add_u32 s16, s16, 1
	v_mov_b32_e32 v21, s18
	s_addc_u32 s17, s17, 0
	v_cmp_eq_u32_e32 vcc, s16, v7
	s_waitcnt vmcnt(0) lgkmcnt(0)
	v_and_b32_e32 v20, 0xffff, v20
	v_lshlrev_b64 v[20:21], s14, v[20:21]
	s_add_u32 s14, s14, 8
	s_addc_u32 s15, s15, 0
	v_or_b32_e32 v19, v21, v19
	s_or_b64 s[12:13], vcc, s[12:13]
	v_or_b32_e32 v18, v20, v18
	s_andn2_b64 exec, exec, s[12:13]
	s_cbranch_execnz .LBB25_30
; %bb.31:                               ;   in Loop: Header=BB25_3 Depth=1
	s_or_b64 exec, exec, s[12:13]
.LBB25_32:                              ;   in Loop: Header=BB25_3 Depth=1
	s_or_b64 exec, exec, s[10:11]
	s_mov_b32 s10, 0
                                        ; implicit-def: $vgpr7
.LBB25_33:                              ;   in Loop: Header=BB25_3 Depth=1
	s_or_saveexec_b64 s[0:1], s[0:1]
	v_mov_b32_e32 v22, s10
	s_xor_b64 exec, exec, s[0:1]
	s_cbranch_execz .LBB25_35
; %bb.34:                               ;   in Loop: Header=BB25_3 Depth=1
	flat_load_dwordx2 v[18:19], v[10:11]
	v_add_u32_e32 v22, -8, v7
	v_lshl_add_u64 v[10:11], v[10:11], 0, 8
	s_waitcnt vmcnt(0) lgkmcnt(0)
	v_and_b32_e32 v7, 0xff, v19
	v_and_b32_e32 v20, 0xff00, v19
	;; [unrolled: 1-line block ×4, first 2 shown]
	v_or_b32_e32 v7, v7, v20
	v_or3_b32 v18, v18, 0, 0
	v_or3_b32 v19, v7, v21, v19
.LBB25_35:                              ;   in Loop: Header=BB25_3 Depth=1
	s_or_b64 exec, exec, s[0:1]
	v_cmp_gt_u32_e32 vcc, 8, v22
                                        ; implicit-def: $sgpr10
	s_and_saveexec_b64 s[0:1], vcc
	s_xor_b64 s[0:1], exec, s[0:1]
	s_cbranch_execz .LBB25_41
; %bb.36:                               ;   in Loop: Header=BB25_3 Depth=1
	v_cmp_ne_u32_e32 vcc, 0, v22
	v_mov_b64_e32 v[20:21], 0
	s_and_saveexec_b64 s[10:11], vcc
	s_cbranch_execz .LBB25_40
; %bb.37:                               ;   in Loop: Header=BB25_3 Depth=1
	s_mov_b64 s[12:13], 0
	v_mov_b64_e32 v[20:21], 0
	s_mov_b64 s[14:15], 0
	s_mov_b64 s[16:17], 0
.LBB25_38:                              ;   Parent Loop BB25_3 Depth=1
                                        ; =>  This Inner Loop Header: Depth=2
	v_lshl_add_u64 v[24:25], v[10:11], 0, s[16:17]
	flat_load_ubyte v7, v[24:25]
	s_add_u32 s16, s16, 1
	v_mov_b32_e32 v25, s18
	s_addc_u32 s17, s17, 0
	v_cmp_eq_u32_e32 vcc, s16, v22
	s_waitcnt vmcnt(0) lgkmcnt(0)
	v_and_b32_e32 v24, 0xffff, v7
	v_lshlrev_b64 v[24:25], s14, v[24:25]
	s_add_u32 s14, s14, 8
	s_addc_u32 s15, s15, 0
	v_or_b32_e32 v21, v25, v21
	s_or_b64 s[12:13], vcc, s[12:13]
	v_or_b32_e32 v20, v24, v20
	s_andn2_b64 exec, exec, s[12:13]
	s_cbranch_execnz .LBB25_38
; %bb.39:                               ;   in Loop: Header=BB25_3 Depth=1
	s_or_b64 exec, exec, s[12:13]
.LBB25_40:                              ;   in Loop: Header=BB25_3 Depth=1
	s_or_b64 exec, exec, s[10:11]
	s_mov_b32 s10, 0
                                        ; implicit-def: $vgpr22
.LBB25_41:                              ;   in Loop: Header=BB25_3 Depth=1
	s_or_saveexec_b64 s[0:1], s[0:1]
	v_mov_b32_e32 v7, s10
	s_xor_b64 exec, exec, s[0:1]
	s_cbranch_execz .LBB25_43
; %bb.42:                               ;   in Loop: Header=BB25_3 Depth=1
	flat_load_dwordx2 v[20:21], v[10:11]
	v_add_u32_e32 v7, -8, v22
	v_lshl_add_u64 v[10:11], v[10:11], 0, 8
	s_waitcnt vmcnt(0) lgkmcnt(0)
	v_and_b32_e32 v22, 0xff, v21
	v_and_b32_e32 v23, 0xff00, v21
	v_and_b32_e32 v24, 0xff0000, v21
	v_and_b32_e32 v21, 0xff000000, v21
	v_or_b32_e32 v22, v22, v23
	v_or3_b32 v20, v20, 0, 0
	v_or3_b32 v21, v22, v24, v21
.LBB25_43:                              ;   in Loop: Header=BB25_3 Depth=1
	s_or_b64 exec, exec, s[0:1]
	v_cmp_gt_u32_e32 vcc, 8, v7
                                        ; implicit-def: $vgpr22_vgpr23
                                        ; implicit-def: $sgpr10
	s_and_saveexec_b64 s[0:1], vcc
	s_xor_b64 s[0:1], exec, s[0:1]
	s_cbranch_execz .LBB25_49
; %bb.44:                               ;   in Loop: Header=BB25_3 Depth=1
	v_cmp_ne_u32_e32 vcc, 0, v7
	v_mov_b64_e32 v[22:23], 0
	s_and_saveexec_b64 s[10:11], vcc
	s_cbranch_execz .LBB25_48
; %bb.45:                               ;   in Loop: Header=BB25_3 Depth=1
	s_mov_b64 s[12:13], 0
	v_mov_b64_e32 v[22:23], 0
	s_mov_b64 s[14:15], 0
	s_mov_b64 s[16:17], 0
.LBB25_46:                              ;   Parent Loop BB25_3 Depth=1
                                        ; =>  This Inner Loop Header: Depth=2
	v_lshl_add_u64 v[24:25], v[10:11], 0, s[16:17]
	flat_load_ubyte v24, v[24:25]
	s_add_u32 s16, s16, 1
	v_mov_b32_e32 v25, s18
	s_addc_u32 s17, s17, 0
	v_cmp_eq_u32_e32 vcc, s16, v7
	s_waitcnt vmcnt(0) lgkmcnt(0)
	v_and_b32_e32 v24, 0xffff, v24
	v_lshlrev_b64 v[24:25], s14, v[24:25]
	s_add_u32 s14, s14, 8
	s_addc_u32 s15, s15, 0
	v_or_b32_e32 v23, v25, v23
	s_or_b64 s[12:13], vcc, s[12:13]
	v_or_b32_e32 v22, v24, v22
	s_andn2_b64 exec, exec, s[12:13]
	s_cbranch_execnz .LBB25_46
; %bb.47:                               ;   in Loop: Header=BB25_3 Depth=1
	s_or_b64 exec, exec, s[12:13]
.LBB25_48:                              ;   in Loop: Header=BB25_3 Depth=1
	s_or_b64 exec, exec, s[10:11]
	s_mov_b32 s10, 0
                                        ; implicit-def: $vgpr7
.LBB25_49:                              ;   in Loop: Header=BB25_3 Depth=1
	s_or_saveexec_b64 s[0:1], s[0:1]
	v_mov_b32_e32 v26, s10
	s_xor_b64 exec, exec, s[0:1]
	s_cbranch_execz .LBB25_51
; %bb.50:                               ;   in Loop: Header=BB25_3 Depth=1
	flat_load_dwordx2 v[22:23], v[10:11]
	v_add_u32_e32 v26, -8, v7
	v_lshl_add_u64 v[10:11], v[10:11], 0, 8
	s_waitcnt vmcnt(0) lgkmcnt(0)
	v_and_b32_e32 v7, 0xff, v23
	v_and_b32_e32 v24, 0xff00, v23
	;; [unrolled: 1-line block ×4, first 2 shown]
	v_or_b32_e32 v7, v7, v24
	v_or3_b32 v22, v22, 0, 0
	v_or3_b32 v23, v7, v25, v23
.LBB25_51:                              ;   in Loop: Header=BB25_3 Depth=1
	s_or_b64 exec, exec, s[0:1]
	v_cmp_gt_u32_e32 vcc, 8, v26
	s_and_saveexec_b64 s[0:1], vcc
	s_xor_b64 s[0:1], exec, s[0:1]
	s_cbranch_execz .LBB25_57
; %bb.52:                               ;   in Loop: Header=BB25_3 Depth=1
	v_cmp_ne_u32_e32 vcc, 0, v26
	v_mov_b64_e32 v[24:25], 0
	s_and_saveexec_b64 s[10:11], vcc
	s_cbranch_execz .LBB25_56
; %bb.53:                               ;   in Loop: Header=BB25_3 Depth=1
	s_mov_b64 s[12:13], 0
	v_mov_b64_e32 v[24:25], 0
	s_mov_b64 s[14:15], 0
.LBB25_54:                              ;   Parent Loop BB25_3 Depth=1
                                        ; =>  This Inner Loop Header: Depth=2
	flat_load_ubyte v7, v[10:11]
	v_mov_b32_e32 v29, s18
	v_add_u32_e32 v26, -1, v26
	v_cmp_eq_u32_e32 vcc, 0, v26
	v_lshl_add_u64 v[10:11], v[10:11], 0, 1
	s_waitcnt vmcnt(0) lgkmcnt(0)
	v_and_b32_e32 v28, 0xffff, v7
	v_lshlrev_b64 v[28:29], s14, v[28:29]
	s_add_u32 s14, s14, 8
	s_addc_u32 s15, s15, 0
	v_or_b32_e32 v25, v29, v25
	s_or_b64 s[12:13], vcc, s[12:13]
	v_or_b32_e32 v24, v28, v24
	s_andn2_b64 exec, exec, s[12:13]
	s_cbranch_execnz .LBB25_54
; %bb.55:                               ;   in Loop: Header=BB25_3 Depth=1
	s_or_b64 exec, exec, s[12:13]
.LBB25_56:                              ;   in Loop: Header=BB25_3 Depth=1
	s_or_b64 exec, exec, s[10:11]
                                        ; implicit-def: $vgpr10_vgpr11
.LBB25_57:                              ;   in Loop: Header=BB25_3 Depth=1
	s_andn2_saveexec_b64 s[0:1], s[0:1]
	s_cbranch_execz .LBB25_59
; %bb.58:                               ;   in Loop: Header=BB25_3 Depth=1
	flat_load_dwordx2 v[10:11], v[10:11]
	s_waitcnt vmcnt(0) lgkmcnt(0)
	v_and_b32_e32 v7, 0xff, v11
	v_and_b32_e32 v24, 0xff00, v11
	;; [unrolled: 1-line block ×4, first 2 shown]
	v_or_b32_e32 v7, v7, v24
	v_or3_b32 v25, v7, v25, v11
	v_or3_b32 v24, v10, 0, 0
.LBB25_59:                              ;   in Loop: Header=BB25_3 Depth=1
	s_or_b64 exec, exec, s[0:1]
	v_readfirstlane_b32 s0, v32
	v_mov_b64_e32 v[10:11], 0
	s_nop 0
	v_cmp_eq_u32_e64 s[0:1], s0, v32
	s_and_saveexec_b64 s[10:11], s[0:1]
	s_cbranch_execz .LBB25_65
; %bb.60:                               ;   in Loop: Header=BB25_3 Depth=1
	s_waitcnt lgkmcnt(0)
	global_load_dwordx2 v[28:29], v31, s[6:7] offset:24 sc0 sc1
	s_waitcnt vmcnt(0)
	buffer_inv sc0 sc1
	global_load_dwordx2 v[10:11], v31, s[6:7] offset:40
	global_load_dwordx2 v[26:27], v31, s[6:7]
	s_waitcnt vmcnt(1)
	v_and_b32_e32 v7, v10, v28
	v_and_b32_e32 v10, v11, v29
	v_mul_lo_u32 v10, v10, 24
	v_mul_hi_u32 v11, v7, 24
	v_add_u32_e32 v11, v11, v10
	v_mul_lo_u32 v10, v7, 24
	s_waitcnt vmcnt(0)
	v_lshl_add_u64 v[10:11], v[26:27], 0, v[10:11]
	global_load_dwordx2 v[26:27], v[10:11], off sc0 sc1
	s_waitcnt vmcnt(0)
	global_atomic_cmpswap_x2 v[10:11], v31, v[26:29], s[6:7] offset:24 sc0 sc1
	s_waitcnt vmcnt(0)
	buffer_inv sc0 sc1
	v_cmp_ne_u64_e32 vcc, v[10:11], v[28:29]
	s_and_saveexec_b64 s[12:13], vcc
	s_cbranch_execz .LBB25_64
; %bb.61:                               ;   in Loop: Header=BB25_3 Depth=1
	s_mov_b64 s[14:15], 0
.LBB25_62:                              ;   Parent Loop BB25_3 Depth=1
                                        ; =>  This Inner Loop Header: Depth=2
	s_sleep 1
	global_load_dwordx2 v[26:27], v31, s[6:7] offset:40
	global_load_dwordx2 v[36:37], v31, s[6:7]
	v_mov_b64_e32 v[28:29], v[10:11]
	s_waitcnt vmcnt(1)
	v_and_b32_e32 v10, v26, v28
	s_waitcnt vmcnt(0)
	v_mad_u64_u32 v[10:11], s[16:17], v10, 24, v[36:37]
	v_and_b32_e32 v7, v27, v29
	v_mov_b32_e32 v26, v11
	v_mad_u64_u32 v[26:27], s[16:17], v7, 24, v[26:27]
	v_mov_b32_e32 v11, v26
	global_load_dwordx2 v[26:27], v[10:11], off sc0 sc1
	s_waitcnt vmcnt(0)
	global_atomic_cmpswap_x2 v[10:11], v31, v[26:29], s[6:7] offset:24 sc0 sc1
	s_waitcnt vmcnt(0)
	buffer_inv sc0 sc1
	v_cmp_eq_u64_e32 vcc, v[10:11], v[28:29]
	s_or_b64 s[14:15], vcc, s[14:15]
	s_andn2_b64 exec, exec, s[14:15]
	s_cbranch_execnz .LBB25_62
; %bb.63:                               ;   in Loop: Header=BB25_3 Depth=1
	s_or_b64 exec, exec, s[14:15]
.LBB25_64:                              ;   in Loop: Header=BB25_3 Depth=1
	s_or_b64 exec, exec, s[12:13]
.LBB25_65:                              ;   in Loop: Header=BB25_3 Depth=1
	s_or_b64 exec, exec, s[10:11]
	s_waitcnt lgkmcnt(0)
	global_load_dwordx2 v[36:37], v31, s[6:7] offset:40
	global_load_dwordx4 v[26:29], v31, s[6:7]
	v_readfirstlane_b32 s10, v10
	v_readfirstlane_b32 s11, v11
	s_mov_b64 s[12:13], exec
	s_waitcnt vmcnt(1)
	v_readfirstlane_b32 s14, v36
	v_readfirstlane_b32 s15, v37
	s_and_b64 s[14:15], s[10:11], s[14:15]
	s_mul_i32 s16, s15, 24
	s_mul_hi_u32 s17, s14, 24
	s_add_i32 s17, s17, s16
	s_mul_i32 s16, s14, 24
	s_waitcnt vmcnt(0)
	v_lshl_add_u64 v[36:37], v[26:27], 0, s[16:17]
	s_and_saveexec_b64 s[16:17], s[0:1]
	s_cbranch_execz .LBB25_67
; %bb.66:                               ;   in Loop: Header=BB25_3 Depth=1
	v_mov_b64_e32 v[10:11], s[12:13]
	global_store_dwordx4 v[36:37], v[10:13], off offset:8
.LBB25_67:                              ;   in Loop: Header=BB25_3 Depth=1
	s_or_b64 exec, exec, s[16:17]
	s_lshl_b64 s[12:13], s[14:15], 12
	v_or_b32_e32 v7, 0, v1
	v_cmp_lt_u64_e32 vcc, 56, v[4:5]
	v_lshl_add_u64 v[10:11], v[28:29], 0, s[12:13]
	v_or_b32_e32 v28, v0, v6
	v_cndmask_b32_e32 v1, v7, v1, vcc
	v_lshl_add_u32 v7, v34, 2, 28
	v_cndmask_b32_e32 v0, v28, v0, vcc
	v_and_b32_e32 v7, 0x1e0, v7
	v_and_or_b32 v0, v0, s19, v7
	v_lshlrev_b32_e32 v30, 6, v32
	v_readfirstlane_b32 s12, v10
	v_readfirstlane_b32 s13, v11
	s_nop 4
	global_store_dwordx4 v30, v[0:3], s[12:13]
	global_store_dwordx4 v30, v[14:17], s[12:13] offset:16
	global_store_dwordx4 v30, v[18:21], s[12:13] offset:32
	;; [unrolled: 1-line block ×3, first 2 shown]
	s_and_saveexec_b64 s[12:13], s[0:1]
	s_cbranch_execz .LBB25_75
; %bb.68:                               ;   in Loop: Header=BB25_3 Depth=1
	global_load_dwordx2 v[18:19], v31, s[6:7] offset:32 sc0 sc1
	global_load_dwordx2 v[0:1], v31, s[6:7] offset:40
	v_mov_b32_e32 v16, s10
	v_mov_b32_e32 v17, s11
	s_waitcnt vmcnt(0)
	v_readfirstlane_b32 s14, v0
	v_readfirstlane_b32 s15, v1
	s_and_b64 s[14:15], s[14:15], s[10:11]
	s_mul_i32 s15, s15, 24
	s_mul_hi_u32 s16, s14, 24
	s_mul_i32 s14, s14, 24
	s_add_i32 s15, s16, s15
	v_lshl_add_u64 v[14:15], v[26:27], 0, s[14:15]
	global_store_dwordx2 v[14:15], v[18:19], off
	buffer_wbl2 sc0 sc1
	s_waitcnt vmcnt(0)
	global_atomic_cmpswap_x2 v[2:3], v31, v[16:19], s[6:7] offset:32 sc0 sc1
	s_waitcnt vmcnt(0)
	v_cmp_ne_u64_e32 vcc, v[2:3], v[18:19]
	s_and_saveexec_b64 s[14:15], vcc
	s_cbranch_execz .LBB25_71
; %bb.69:                               ;   in Loop: Header=BB25_3 Depth=1
	s_mov_b64 s[16:17], 0
.LBB25_70:                              ;   Parent Loop BB25_3 Depth=1
                                        ; =>  This Inner Loop Header: Depth=2
	s_sleep 1
	global_store_dwordx2 v[14:15], v[2:3], off
	v_mov_b32_e32 v0, s10
	v_mov_b32_e32 v1, s11
	buffer_wbl2 sc0 sc1
	s_waitcnt vmcnt(0)
	global_atomic_cmpswap_x2 v[0:1], v31, v[0:3], s[6:7] offset:32 sc0 sc1
	s_waitcnt vmcnt(0)
	v_cmp_eq_u64_e32 vcc, v[0:1], v[2:3]
	s_or_b64 s[16:17], vcc, s[16:17]
	v_mov_b64_e32 v[2:3], v[0:1]
	s_andn2_b64 exec, exec, s[16:17]
	s_cbranch_execnz .LBB25_70
.LBB25_71:                              ;   in Loop: Header=BB25_3 Depth=1
	s_or_b64 exec, exec, s[14:15]
	global_load_dwordx2 v[0:1], v31, s[6:7] offset:16
	s_mov_b64 s[16:17], exec
	v_mbcnt_lo_u32_b32 v2, s16, 0
	v_mbcnt_hi_u32_b32 v2, s17, v2
	v_cmp_eq_u32_e32 vcc, 0, v2
	s_and_saveexec_b64 s[14:15], vcc
	s_cbranch_execz .LBB25_73
; %bb.72:                               ;   in Loop: Header=BB25_3 Depth=1
	s_bcnt1_i32_b64 s16, s[16:17]
	v_mov_b32_e32 v2, s16
	v_mov_b32_e32 v3, v31
	buffer_wbl2 sc0 sc1
	s_waitcnt vmcnt(0)
	global_atomic_add_x2 v[0:1], v[2:3], off offset:8 sc1
.LBB25_73:                              ;   in Loop: Header=BB25_3 Depth=1
	s_or_b64 exec, exec, s[14:15]
	s_waitcnt vmcnt(0)
	global_load_dwordx2 v[2:3], v[0:1], off offset:16
	s_waitcnt vmcnt(0)
	v_cmp_eq_u64_e32 vcc, 0, v[2:3]
	s_cbranch_vccnz .LBB25_75
; %bb.74:                               ;   in Loop: Header=BB25_3 Depth=1
	global_load_dword v0, v[0:1], off offset:24
	v_mov_b32_e32 v1, v31
	buffer_wbl2 sc0 sc1
	s_waitcnt vmcnt(0)
	global_store_dwordx2 v[2:3], v[0:1], off sc0 sc1
	v_and_b32_e32 v0, 0xffffff, v0
	s_nop 0
	v_readfirstlane_b32 m0, v0
	s_sendmsg sendmsg(MSG_INTERRUPT)
.LBB25_75:                              ;   in Loop: Header=BB25_3 Depth=1
	s_or_b64 exec, exec, s[12:13]
	v_lshl_add_u64 v[0:1], v[10:11], 0, v[30:31]
	s_branch .LBB25_79
.LBB25_76:                              ;   in Loop: Header=BB25_79 Depth=2
	s_or_b64 exec, exec, s[12:13]
	v_readfirstlane_b32 s12, v2
	s_cmp_eq_u32 s12, 0
	s_cbranch_scc1 .LBB25_78
; %bb.77:                               ;   in Loop: Header=BB25_79 Depth=2
	s_sleep 1
	s_cbranch_execnz .LBB25_79
	s_branch .LBB25_81
.LBB25_78:                              ;   in Loop: Header=BB25_3 Depth=1
	s_branch .LBB25_81
.LBB25_79:                              ;   Parent Loop BB25_3 Depth=1
                                        ; =>  This Inner Loop Header: Depth=2
	v_mov_b32_e32 v2, 1
	s_and_saveexec_b64 s[12:13], s[0:1]
	s_cbranch_execz .LBB25_76
; %bb.80:                               ;   in Loop: Header=BB25_79 Depth=2
	global_load_dword v2, v[36:37], off offset:20 sc0 sc1
	s_waitcnt vmcnt(0)
	buffer_inv sc0 sc1
	v_and_b32_e32 v2, 1, v2
	s_branch .LBB25_76
.LBB25_81:                              ;   in Loop: Header=BB25_3 Depth=1
	global_load_dwordx4 v[0:3], v[0:1], off
	s_and_saveexec_b64 s[12:13], s[0:1]
	s_cbranch_execz .LBB25_2
; %bb.82:                               ;   in Loop: Header=BB25_3 Depth=1
	global_load_dwordx2 v[2:3], v31, s[6:7] offset:40
	global_load_dwordx2 v[10:11], v31, s[6:7] offset:24 sc0 sc1
	global_load_dwordx2 v[18:19], v31, s[6:7]
	s_waitcnt vmcnt(2)
	v_lshl_add_u64 v[14:15], v[2:3], 0, 1
	v_lshl_add_u64 v[20:21], v[14:15], 0, s[10:11]
	v_cmp_eq_u64_e32 vcc, 0, v[20:21]
	s_waitcnt vmcnt(1)
	v_mov_b32_e32 v16, v10
	v_mov_b32_e32 v17, v11
	v_cndmask_b32_e32 v15, v21, v15, vcc
	v_cndmask_b32_e32 v14, v20, v14, vcc
	v_and_b32_e32 v3, v15, v3
	v_and_b32_e32 v2, v14, v2
	v_mul_lo_u32 v3, v3, 24
	v_mul_hi_u32 v7, v2, 24
	v_mul_lo_u32 v2, v2, 24
	v_add_u32_e32 v3, v7, v3
	s_waitcnt vmcnt(0)
	v_lshl_add_u64 v[2:3], v[18:19], 0, v[2:3]
	global_store_dwordx2 v[2:3], v[10:11], off
	buffer_wbl2 sc0 sc1
	s_waitcnt vmcnt(0)
	global_atomic_cmpswap_x2 v[16:17], v31, v[14:17], s[6:7] offset:24 sc0 sc1
	s_waitcnt vmcnt(0)
	v_cmp_ne_u64_e32 vcc, v[16:17], v[10:11]
	s_and_b64 exec, exec, vcc
	s_cbranch_execz .LBB25_2
; %bb.83:                               ;   in Loop: Header=BB25_3 Depth=1
	s_mov_b64 s[0:1], 0
.LBB25_84:                              ;   Parent Loop BB25_3 Depth=1
                                        ; =>  This Inner Loop Header: Depth=2
	s_sleep 1
	global_store_dwordx2 v[2:3], v[16:17], off
	buffer_wbl2 sc0 sc1
	s_waitcnt vmcnt(0)
	global_atomic_cmpswap_x2 v[10:11], v31, v[14:17], s[6:7] offset:24 sc0 sc1
	s_waitcnt vmcnt(0)
	v_cmp_eq_u64_e32 vcc, v[10:11], v[16:17]
	s_or_b64 s[0:1], vcc, s[0:1]
	v_mov_b64_e32 v[16:17], v[10:11]
	s_andn2_b64 exec, exec, s[0:1]
	s_cbranch_execnz .LBB25_84
	s_branch .LBB25_2
.LBB25_85:
	s_or_b64 exec, exec, s[2:3]
                                        ; implicit-def: $vgpr0
                                        ; implicit-def: $vgpr1
                                        ; implicit-def: $vgpr2
.LBB25_86:
	s_andn2_saveexec_b64 s[2:3], s[4:5]
	s_cbranch_execz .LBB25_109
; %bb.87:
	s_load_dwordx2 s[4:5], s[8:9], 0x50
	s_waitcnt vmcnt(0)
	v_mbcnt_hi_u32_b32 v3, -1, v2
	v_mov_b64_e32 v[8:9], 0
	v_readfirstlane_b32 s0, v3
	s_nop 1
	v_cmp_eq_u32_e64 s[0:1], s0, v3
	s_and_saveexec_b64 s[6:7], s[0:1]
	s_cbranch_execz .LBB25_93
; %bb.88:
	v_mov_b32_e32 v2, 0
	s_waitcnt lgkmcnt(0)
	global_load_dwordx2 v[6:7], v2, s[4:5] offset:24 sc0 sc1
	s_waitcnt vmcnt(0)
	buffer_inv sc0 sc1
	global_load_dwordx2 v[4:5], v2, s[4:5] offset:40
	global_load_dwordx2 v[8:9], v2, s[4:5]
	s_waitcnt vmcnt(1)
	v_and_b32_e32 v4, v4, v6
	v_and_b32_e32 v5, v5, v7
	v_mul_lo_u32 v5, v5, 24
	v_mul_hi_u32 v10, v4, 24
	v_add_u32_e32 v5, v10, v5
	v_mul_lo_u32 v4, v4, 24
	s_waitcnt vmcnt(0)
	v_lshl_add_u64 v[4:5], v[8:9], 0, v[4:5]
	global_load_dwordx2 v[4:5], v[4:5], off sc0 sc1
	s_waitcnt vmcnt(0)
	global_atomic_cmpswap_x2 v[8:9], v2, v[4:7], s[4:5] offset:24 sc0 sc1
	s_waitcnt vmcnt(0)
	buffer_inv sc0 sc1
	v_cmp_ne_u64_e32 vcc, v[8:9], v[6:7]
	s_and_saveexec_b64 s[8:9], vcc
	s_cbranch_execz .LBB25_92
; %bb.89:
	s_mov_b64 s[10:11], 0
.LBB25_90:                              ; =>This Inner Loop Header: Depth=1
	s_sleep 1
	global_load_dwordx2 v[4:5], v2, s[4:5] offset:40
	global_load_dwordx2 v[10:11], v2, s[4:5]
	v_mov_b64_e32 v[6:7], v[8:9]
	s_waitcnt vmcnt(1)
	v_and_b32_e32 v4, v4, v6
	v_and_b32_e32 v9, v5, v7
	s_waitcnt vmcnt(0)
	v_mad_u64_u32 v[4:5], s[12:13], v4, 24, v[10:11]
	v_mov_b32_e32 v8, v5
	v_mad_u64_u32 v[8:9], s[12:13], v9, 24, v[8:9]
	v_mov_b32_e32 v5, v8
	global_load_dwordx2 v[4:5], v[4:5], off sc0 sc1
	s_waitcnt vmcnt(0)
	global_atomic_cmpswap_x2 v[8:9], v2, v[4:7], s[4:5] offset:24 sc0 sc1
	s_waitcnt vmcnt(0)
	buffer_inv sc0 sc1
	v_cmp_eq_u64_e32 vcc, v[8:9], v[6:7]
	s_or_b64 s[10:11], vcc, s[10:11]
	s_andn2_b64 exec, exec, s[10:11]
	s_cbranch_execnz .LBB25_90
; %bb.91:
	s_or_b64 exec, exec, s[10:11]
.LBB25_92:
	s_or_b64 exec, exec, s[8:9]
.LBB25_93:
	s_or_b64 exec, exec, s[6:7]
	v_mov_b32_e32 v2, 0
	s_waitcnt lgkmcnt(0)
	global_load_dwordx2 v[10:11], v2, s[4:5] offset:40
	global_load_dwordx4 v[4:7], v2, s[4:5]
	v_readfirstlane_b32 s6, v8
	v_readfirstlane_b32 s7, v9
	s_mov_b64 s[8:9], exec
	s_waitcnt vmcnt(1)
	v_readfirstlane_b32 s10, v10
	v_readfirstlane_b32 s11, v11
	s_and_b64 s[10:11], s[6:7], s[10:11]
	s_mul_i32 s12, s11, 24
	s_mul_hi_u32 s13, s10, 24
	s_add_i32 s13, s13, s12
	s_mul_i32 s12, s10, 24
	s_waitcnt vmcnt(0)
	v_lshl_add_u64 v[8:9], v[4:5], 0, s[12:13]
	s_and_saveexec_b64 s[12:13], s[0:1]
	s_cbranch_execz .LBB25_95
; %bb.94:
	v_mov_b64_e32 v[10:11], s[8:9]
	v_mov_b32_e32 v12, 2
	v_mov_b32_e32 v13, 1
	global_store_dwordx4 v[8:9], v[10:13], off offset:8
.LBB25_95:
	s_or_b64 exec, exec, s[12:13]
	s_lshl_b64 s[8:9], s[10:11], 12
	v_lshl_add_u64 v[6:7], v[6:7], 0, s[8:9]
	s_movk_i32 s8, 0xff1f
	v_and_or_b32 v0, v0, s8, 32
	s_mov_b32 s8, 0
	v_lshlrev_b32_e32 v10, 6, v3
	v_mov_b32_e32 v3, v2
	v_readfirstlane_b32 s12, v6
	v_readfirstlane_b32 s13, v7
	s_mov_b32 s9, s8
	s_mov_b32 s10, s8
	;; [unrolled: 1-line block ×3, first 2 shown]
	s_nop 1
	global_store_dwordx4 v10, v[0:3], s[12:13]
	s_nop 1
	v_mov_b64_e32 v[0:1], s[8:9]
	v_mov_b64_e32 v[2:3], s[10:11]
	global_store_dwordx4 v10, v[0:3], s[12:13] offset:16
	global_store_dwordx4 v10, v[0:3], s[12:13] offset:32
	;; [unrolled: 1-line block ×3, first 2 shown]
	s_and_saveexec_b64 s[8:9], s[0:1]
	s_cbranch_execz .LBB25_103
; %bb.96:
	v_mov_b32_e32 v6, 0
	global_load_dwordx2 v[12:13], v6, s[4:5] offset:32 sc0 sc1
	global_load_dwordx2 v[0:1], v6, s[4:5] offset:40
	v_mov_b32_e32 v10, s6
	v_mov_b32_e32 v11, s7
	s_waitcnt vmcnt(0)
	v_and_b32_e32 v0, s6, v0
	v_and_b32_e32 v1, s7, v1
	v_mul_lo_u32 v1, v1, 24
	v_mul_hi_u32 v2, v0, 24
	v_mul_lo_u32 v0, v0, 24
	v_add_u32_e32 v1, v2, v1
	v_lshl_add_u64 v[4:5], v[4:5], 0, v[0:1]
	global_store_dwordx2 v[4:5], v[12:13], off
	buffer_wbl2 sc0 sc1
	s_waitcnt vmcnt(0)
	global_atomic_cmpswap_x2 v[2:3], v6, v[10:13], s[4:5] offset:32 sc0 sc1
	s_waitcnt vmcnt(0)
	v_cmp_ne_u64_e32 vcc, v[2:3], v[12:13]
	s_and_saveexec_b64 s[10:11], vcc
	s_cbranch_execz .LBB25_99
; %bb.97:
	s_mov_b64 s[12:13], 0
.LBB25_98:                              ; =>This Inner Loop Header: Depth=1
	s_sleep 1
	global_store_dwordx2 v[4:5], v[2:3], off
	v_mov_b32_e32 v0, s6
	v_mov_b32_e32 v1, s7
	buffer_wbl2 sc0 sc1
	s_waitcnt vmcnt(0)
	global_atomic_cmpswap_x2 v[0:1], v6, v[0:3], s[4:5] offset:32 sc0 sc1
	s_waitcnt vmcnt(0)
	v_cmp_eq_u64_e32 vcc, v[0:1], v[2:3]
	s_or_b64 s[12:13], vcc, s[12:13]
	v_mov_b64_e32 v[2:3], v[0:1]
	s_andn2_b64 exec, exec, s[12:13]
	s_cbranch_execnz .LBB25_98
.LBB25_99:
	s_or_b64 exec, exec, s[10:11]
	v_mov_b32_e32 v3, 0
	global_load_dwordx2 v[0:1], v3, s[4:5] offset:16
	s_mov_b64 s[10:11], exec
	v_mbcnt_lo_u32_b32 v2, s10, 0
	v_mbcnt_hi_u32_b32 v2, s11, v2
	v_cmp_eq_u32_e32 vcc, 0, v2
	s_and_saveexec_b64 s[12:13], vcc
	s_cbranch_execz .LBB25_101
; %bb.100:
	s_bcnt1_i32_b64 s10, s[10:11]
	v_mov_b32_e32 v2, s10
	buffer_wbl2 sc0 sc1
	s_waitcnt vmcnt(0)
	global_atomic_add_x2 v[0:1], v[2:3], off offset:8 sc1
.LBB25_101:
	s_or_b64 exec, exec, s[12:13]
	s_waitcnt vmcnt(0)
	global_load_dwordx2 v[2:3], v[0:1], off offset:16
	s_waitcnt vmcnt(0)
	v_cmp_eq_u64_e32 vcc, 0, v[2:3]
	s_cbranch_vccnz .LBB25_103
; %bb.102:
	global_load_dword v0, v[0:1], off offset:24
	v_mov_b32_e32 v1, 0
	buffer_wbl2 sc0 sc1
	s_waitcnt vmcnt(0)
	global_store_dwordx2 v[2:3], v[0:1], off sc0 sc1
	v_and_b32_e32 v0, 0xffffff, v0
	s_nop 0
	v_readfirstlane_b32 m0, v0
	s_sendmsg sendmsg(MSG_INTERRUPT)
.LBB25_103:
	s_or_b64 exec, exec, s[8:9]
	s_branch .LBB25_107
.LBB25_104:                             ;   in Loop: Header=BB25_107 Depth=1
	s_or_b64 exec, exec, s[8:9]
	v_readfirstlane_b32 s8, v0
	s_cmp_eq_u32 s8, 0
	s_cbranch_scc1 .LBB25_106
; %bb.105:                              ;   in Loop: Header=BB25_107 Depth=1
	s_sleep 1
	s_cbranch_execnz .LBB25_107
	s_branch .LBB25_110
.LBB25_106:
	s_branch .LBB25_110
.LBB25_107:                             ; =>This Inner Loop Header: Depth=1
	v_mov_b32_e32 v0, 1
	s_and_saveexec_b64 s[8:9], s[0:1]
	s_cbranch_execz .LBB25_104
; %bb.108:                              ;   in Loop: Header=BB25_107 Depth=1
	global_load_dword v0, v[8:9], off offset:20 sc0 sc1
	s_waitcnt vmcnt(0)
	buffer_inv sc0 sc1
	v_and_b32_e32 v0, 1, v0
	s_branch .LBB25_104
.LBB25_109:
	s_or_b64 exec, exec, s[2:3]
	s_waitcnt vmcnt(0) lgkmcnt(0)
	s_setpc_b64 s[30:31]
.LBB25_110:
	s_and_saveexec_b64 s[8:9], s[0:1]
	s_cbranch_execz .LBB25_113
; %bb.111:
	v_mov_b32_e32 v6, 0
	global_load_dwordx2 v[4:5], v6, s[4:5] offset:40
	global_load_dwordx2 v[8:9], v6, s[4:5] offset:24 sc0 sc1
	global_load_dwordx2 v[10:11], v6, s[4:5]
	s_mov_b64 s[0:1], 0
	s_waitcnt vmcnt(2)
	v_lshl_add_u64 v[0:1], v[4:5], 0, 1
	v_lshl_add_u64 v[12:13], v[0:1], 0, s[6:7]
	v_cmp_eq_u64_e32 vcc, 0, v[12:13]
	s_waitcnt vmcnt(1)
	v_mov_b32_e32 v2, v8
	v_cndmask_b32_e32 v1, v13, v1, vcc
	v_cndmask_b32_e32 v0, v12, v0, vcc
	v_and_b32_e32 v3, v1, v5
	v_and_b32_e32 v4, v0, v4
	v_mul_lo_u32 v3, v3, 24
	v_mul_hi_u32 v5, v4, 24
	v_mul_lo_u32 v4, v4, 24
	v_add_u32_e32 v5, v5, v3
	s_waitcnt vmcnt(0)
	v_lshl_add_u64 v[4:5], v[10:11], 0, v[4:5]
	global_store_dwordx2 v[4:5], v[8:9], off
	v_mov_b32_e32 v3, v9
	buffer_wbl2 sc0 sc1
	s_waitcnt vmcnt(0)
	global_atomic_cmpswap_x2 v[2:3], v6, v[0:3], s[4:5] offset:24 sc0 sc1
	s_waitcnt vmcnt(0)
	v_cmp_ne_u64_e32 vcc, v[2:3], v[8:9]
	s_and_b64 exec, exec, vcc
	s_cbranch_execz .LBB25_113
.LBB25_112:                             ; =>This Inner Loop Header: Depth=1
	s_sleep 1
	global_store_dwordx2 v[4:5], v[2:3], off
	buffer_wbl2 sc0 sc1
	s_waitcnt vmcnt(0)
	global_atomic_cmpswap_x2 v[8:9], v6, v[0:3], s[4:5] offset:24 sc0 sc1
	s_waitcnt vmcnt(0)
	v_cmp_eq_u64_e32 vcc, v[8:9], v[2:3]
	s_or_b64 s[0:1], vcc, s[0:1]
	v_mov_b64_e32 v[2:3], v[8:9]
	s_andn2_b64 exec, exec, s[0:1]
	s_cbranch_execnz .LBB25_112
.LBB25_113:
	s_or_b64 exec, exec, s[8:9]
	s_or_b64 exec, exec, s[2:3]
	s_waitcnt vmcnt(0) lgkmcnt(0)
	s_setpc_b64 s[30:31]
.Lfunc_end25:
	.size	__ockl_fprintf_append_string_n, .Lfunc_end25-__ockl_fprintf_append_string_n
                                        ; -- End function
	.section	.AMDGPU.csdata,"",@progbits
; Function info:
; codeLenInByte = 4188
; NumSgprs: 38
; NumVgprs: 38
; NumAgprs: 0
; TotalNumVgprs: 38
; ScratchSize: 0
; MemoryBound: 0
	.text
	.p2align	2                               ; -- Begin function __assert_fail
	.type	__assert_fail,@function
__assert_fail:                          ; @__assert_fail
; %bb.0:
	s_waitcnt vmcnt(0) expcnt(0) lgkmcnt(0)
	s_mov_b32 s20, s33
	s_mov_b32 s33, s32
	s_or_saveexec_b64 s[0:1], -1
	scratch_store_dword off, v40, s33 offset:48 ; 4-byte Folded Spill
	s_mov_b64 exec, s[0:1]
	v_writelane_b32 v40, s30, 0
	s_add_i32 s32, s32, 64
	s_nop 0
	v_writelane_b32 v40, s31, 1
	s_getpc_b64 s[0:1]
	s_add_u32 s0, s0, __const.__assert_fail.fmt@rel32@lo+4
	s_addc_u32 s1, s1, __const.__assert_fail.fmt@rel32@hi+12
	s_load_dwordx4 s[0:3], s[0:1], 0x0
	s_getpc_b64 s[4:5]
	s_add_u32 s4, s4, __const.__assert_fail.fmt@rel32@lo+20
	s_addc_u32 s5, s5, __const.__assert_fail.fmt@rel32@hi+28
	s_load_dwordx4 s[4:7], s[4:5], 0x0
	v_mov_b32_e32 v37, v6
	v_mov_b32_e32 v6, v0
	s_waitcnt lgkmcnt(0)
	v_mov_b64_e32 v[10:11], s[2:3]
	v_mov_b32_e32 v0, 0xa2e
	v_mov_b64_e32 v[8:9], s[0:1]
	s_load_dwordx2 s[2:3], s[8:9], 0x50
	scratch_store_short off, v0, s33 offset:44
	v_mbcnt_lo_u32_b32 v0, -1, 0
	scratch_store_dwordx4 off, v[8:11], s33
	v_mbcnt_hi_u32_b32 v52, -1, v0
	v_mov_b32_e32 v36, v5
	v_mov_b64_e32 v[10:11], s[6:7]
	v_mov_b64_e32 v[8:9], s[4:5]
	v_readfirstlane_b32 s0, v52
	v_mov_b32_e32 v7, v1
	v_mov_b32_e32 v5, 0
	scratch_store_dwordx4 off, v[8:11], s33 offset:16
	v_cmp_eq_u32_e64 s[0:1], s0, v52
	v_mov_b64_e32 v[0:1], 0
	v_mov_b32_e32 v8, 0x73256020
	v_mov_b32_e32 v9, 0x61662027
	;; [unrolled: 1-line block ×3, first 2 shown]
	scratch_store_byte off, v5, s33 offset:46
	scratch_store_dwordx3 off, v[8:10], s33 offset:32
	s_and_saveexec_b64 s[4:5], s[0:1]
	s_cbranch_execz .LBB26_6
; %bb.1:
	s_waitcnt lgkmcnt(0)
	global_load_dwordx2 v[10:11], v5, s[2:3] offset:24 sc0 sc1
	s_waitcnt vmcnt(0)
	buffer_inv sc0 sc1
	global_load_dwordx2 v[0:1], v5, s[2:3] offset:40
	global_load_dwordx2 v[8:9], v5, s[2:3]
	s_waitcnt vmcnt(1)
	v_and_b32_e32 v0, v0, v10
	v_and_b32_e32 v1, v1, v11
	v_mul_lo_u32 v1, v1, 24
	v_mul_hi_u32 v12, v0, 24
	v_add_u32_e32 v1, v12, v1
	v_mul_lo_u32 v0, v0, 24
	s_waitcnt vmcnt(0)
	v_lshl_add_u64 v[0:1], v[8:9], 0, v[0:1]
	global_load_dwordx2 v[8:9], v[0:1], off sc0 sc1
	s_waitcnt vmcnt(0)
	global_atomic_cmpswap_x2 v[0:1], v5, v[8:11], s[2:3] offset:24 sc0 sc1
	s_waitcnt vmcnt(0)
	buffer_inv sc0 sc1
	v_cmp_ne_u64_e32 vcc, v[0:1], v[10:11]
	s_and_saveexec_b64 s[6:7], vcc
	s_cbranch_execz .LBB26_5
; %bb.2:
	s_mov_b64 s[10:11], 0
.LBB26_3:                               ; =>This Inner Loop Header: Depth=1
	s_sleep 1
	global_load_dwordx2 v[8:9], v5, s[2:3] offset:40
	global_load_dwordx2 v[12:13], v5, s[2:3]
	v_mov_b64_e32 v[10:11], v[0:1]
	s_waitcnt vmcnt(1)
	v_and_b32_e32 v0, v8, v10
	s_waitcnt vmcnt(0)
	v_mad_u64_u32 v[0:1], s[12:13], v0, 24, v[12:13]
	v_and_b32_e32 v9, v9, v11
	v_mov_b32_e32 v8, v1
	v_mad_u64_u32 v[8:9], s[12:13], v9, 24, v[8:9]
	v_mov_b32_e32 v1, v8
	global_load_dwordx2 v[8:9], v[0:1], off sc0 sc1
	s_waitcnt vmcnt(0)
	global_atomic_cmpswap_x2 v[0:1], v5, v[8:11], s[2:3] offset:24 sc0 sc1
	s_waitcnt vmcnt(0)
	buffer_inv sc0 sc1
	v_cmp_eq_u64_e32 vcc, v[0:1], v[10:11]
	s_or_b64 s[10:11], vcc, s[10:11]
	s_andn2_b64 exec, exec, s[10:11]
	s_cbranch_execnz .LBB26_3
; %bb.4:
	s_or_b64 exec, exec, s[10:11]
.LBB26_5:
	s_or_b64 exec, exec, s[6:7]
.LBB26_6:
	s_or_b64 exec, exec, s[4:5]
	s_waitcnt lgkmcnt(0)
	global_load_dwordx2 v[12:13], v5, s[2:3] offset:40
	global_load_dwordx4 v[8:11], v5, s[2:3]
	v_readfirstlane_b32 s4, v0
	v_readfirstlane_b32 s5, v1
	s_mov_b64 s[6:7], exec
	s_waitcnt vmcnt(1)
	v_readfirstlane_b32 s10, v12
	v_readfirstlane_b32 s11, v13
	s_and_b64 s[10:11], s[4:5], s[10:11]
	s_mul_i32 s12, s11, 24
	s_mul_hi_u32 s13, s10, 24
	s_add_i32 s13, s13, s12
	s_mul_i32 s12, s10, 24
	s_waitcnt vmcnt(0)
	v_lshl_add_u64 v[0:1], v[8:9], 0, s[12:13]
	s_and_saveexec_b64 s[12:13], s[0:1]
	s_cbranch_execz .LBB26_8
; %bb.7:
	v_mov_b64_e32 v[12:13], s[6:7]
	v_mov_b32_e32 v14, 2
	v_mov_b32_e32 v15, 1
	global_store_dwordx4 v[0:1], v[12:15], off offset:8
.LBB26_8:
	s_or_b64 exec, exec, s[12:13]
	s_lshl_b64 s[6:7], s[10:11], 12
	v_lshl_add_u64 v[12:13], v[10:11], 0, s[6:7]
	s_mov_b32 s12, 0
	v_mov_b32_e32 v35, 0
	v_lshlrev_b32_e32 v34, 6, v52
	v_mov_b32_e32 v14, 33
	v_mov_b32_e32 v16, 1
	;; [unrolled: 1-line block ×4, first 2 shown]
	v_readfirstlane_b32 s6, v12
	v_readfirstlane_b32 s7, v13
	s_mov_b32 s14, s12
	s_mov_b32 s15, s12
	;; [unrolled: 1-line block ×3, first 2 shown]
	s_nop 1
	global_store_dwordx4 v34, v[14:17], s[6:7]
	s_nop 1
	v_mov_b64_e32 v[16:17], s[14:15]
	v_mov_b64_e32 v[14:15], s[12:13]
	global_store_dwordx4 v34, v[14:17], s[6:7] offset:16
	global_store_dwordx4 v34, v[14:17], s[6:7] offset:32
	global_store_dwordx4 v34, v[14:17], s[6:7] offset:48
	s_and_saveexec_b64 s[6:7], s[0:1]
	s_cbranch_execz .LBB26_16
; %bb.9:
	global_load_dwordx2 v[18:19], v35, s[2:3] offset:32 sc0 sc1
	global_load_dwordx2 v[10:11], v35, s[2:3] offset:40
	v_mov_b32_e32 v16, s4
	v_mov_b32_e32 v17, s5
	s_waitcnt vmcnt(0)
	v_and_b32_e32 v5, s4, v10
	v_and_b32_e32 v10, s5, v11
	v_mul_lo_u32 v11, v10, 24
	v_mul_hi_u32 v14, v5, 24
	v_mul_lo_u32 v10, v5, 24
	v_add_u32_e32 v11, v14, v11
	v_lshl_add_u64 v[14:15], v[8:9], 0, v[10:11]
	global_store_dwordx2 v[14:15], v[18:19], off
	buffer_wbl2 sc0 sc1
	s_waitcnt vmcnt(0)
	global_atomic_cmpswap_x2 v[10:11], v35, v[16:19], s[2:3] offset:32 sc0 sc1
	s_waitcnt vmcnt(0)
	v_cmp_ne_u64_e32 vcc, v[10:11], v[18:19]
	s_and_saveexec_b64 s[10:11], vcc
	s_cbranch_execz .LBB26_12
; %bb.10:
	s_mov_b64 s[12:13], 0
.LBB26_11:                              ; =>This Inner Loop Header: Depth=1
	s_sleep 1
	global_store_dwordx2 v[14:15], v[10:11], off
	v_mov_b32_e32 v8, s4
	v_mov_b32_e32 v9, s5
	buffer_wbl2 sc0 sc1
	s_waitcnt vmcnt(0)
	global_atomic_cmpswap_x2 v[8:9], v35, v[8:11], s[2:3] offset:32 sc0 sc1
	s_waitcnt vmcnt(0)
	v_cmp_eq_u64_e32 vcc, v[8:9], v[10:11]
	s_or_b64 s[12:13], vcc, s[12:13]
	v_mov_b64_e32 v[10:11], v[8:9]
	s_andn2_b64 exec, exec, s[12:13]
	s_cbranch_execnz .LBB26_11
.LBB26_12:
	s_or_b64 exec, exec, s[10:11]
	v_mov_b32_e32 v11, 0
	global_load_dwordx2 v[8:9], v11, s[2:3] offset:16
	s_mov_b64 s[10:11], exec
	v_mbcnt_lo_u32_b32 v5, s10, 0
	v_mbcnt_hi_u32_b32 v5, s11, v5
	v_cmp_eq_u32_e32 vcc, 0, v5
	s_and_saveexec_b64 s[12:13], vcc
	s_cbranch_execz .LBB26_14
; %bb.13:
	s_bcnt1_i32_b64 s10, s[10:11]
	v_mov_b32_e32 v10, s10
	buffer_wbl2 sc0 sc1
	s_waitcnt vmcnt(0)
	global_atomic_add_x2 v[8:9], v[10:11], off offset:8 sc1
.LBB26_14:
	s_or_b64 exec, exec, s[12:13]
	s_waitcnt vmcnt(0)
	global_load_dwordx2 v[10:11], v[8:9], off offset:16
	s_waitcnt vmcnt(0)
	v_cmp_eq_u64_e32 vcc, 0, v[10:11]
	s_cbranch_vccnz .LBB26_16
; %bb.15:
	global_load_dword v8, v[8:9], off offset:24
	v_mov_b32_e32 v9, 0
	s_waitcnt vmcnt(0)
	v_and_b32_e32 v5, 0xffffff, v8
	s_nop 0
	v_readfirstlane_b32 m0, v5
	buffer_wbl2 sc0 sc1
	global_store_dwordx2 v[10:11], v[8:9], off sc0 sc1
	s_sendmsg sendmsg(MSG_INTERRUPT)
.LBB26_16:
	s_or_b64 exec, exec, s[6:7]
	v_lshl_add_u64 v[8:9], v[12:13], 0, v[34:35]
	s_branch .LBB26_20
.LBB26_17:                              ;   in Loop: Header=BB26_20 Depth=1
	s_or_b64 exec, exec, s[6:7]
	v_readfirstlane_b32 s6, v5
	s_cmp_eq_u32 s6, 0
	s_cbranch_scc1 .LBB26_19
; %bb.18:                               ;   in Loop: Header=BB26_20 Depth=1
	s_sleep 1
	s_cbranch_execnz .LBB26_20
	s_branch .LBB26_22
.LBB26_19:
	s_branch .LBB26_22
.LBB26_20:                              ; =>This Inner Loop Header: Depth=1
	v_mov_b32_e32 v5, 1
	s_and_saveexec_b64 s[6:7], s[0:1]
	s_cbranch_execz .LBB26_17
; %bb.21:                               ;   in Loop: Header=BB26_20 Depth=1
	global_load_dword v5, v[0:1], off offset:20 sc0 sc1
	s_waitcnt vmcnt(0)
	buffer_inv sc0 sc1
	v_and_b32_e32 v5, 1, v5
	s_branch .LBB26_17
.LBB26_22:
	global_load_dwordx2 v[12:13], v[8:9], off
	s_and_saveexec_b64 s[6:7], s[0:1]
	s_cbranch_execz .LBB26_25
; %bb.23:
	v_mov_b32_e32 v5, 0
	global_load_dwordx2 v[0:1], v5, s[2:3] offset:40
	global_load_dwordx2 v[14:15], v5, s[2:3] offset:24 sc0 sc1
	global_load_dwordx2 v[16:17], v5, s[2:3]
	s_mov_b64 s[0:1], 0
	s_waitcnt vmcnt(2)
	v_lshl_add_u64 v[8:9], v[0:1], 0, 1
	v_lshl_add_u64 v[18:19], v[8:9], 0, s[4:5]
	v_cmp_eq_u64_e32 vcc, 0, v[18:19]
	s_waitcnt vmcnt(1)
	v_mov_b32_e32 v10, v14
	v_cndmask_b32_e32 v9, v19, v9, vcc
	v_cndmask_b32_e32 v8, v18, v8, vcc
	v_and_b32_e32 v1, v9, v1
	v_and_b32_e32 v0, v8, v0
	v_mul_lo_u32 v1, v1, 24
	v_mul_hi_u32 v11, v0, 24
	v_mul_lo_u32 v0, v0, 24
	v_add_u32_e32 v1, v11, v1
	s_waitcnt vmcnt(0)
	v_lshl_add_u64 v[0:1], v[16:17], 0, v[0:1]
	global_store_dwordx2 v[0:1], v[14:15], off
	v_mov_b32_e32 v11, v15
	buffer_wbl2 sc0 sc1
	s_waitcnt vmcnt(0)
	global_atomic_cmpswap_x2 v[10:11], v5, v[8:11], s[2:3] offset:24 sc0 sc1
	s_waitcnt vmcnt(0)
	v_cmp_ne_u64_e32 vcc, v[10:11], v[14:15]
	s_and_b64 exec, exec, vcc
	s_cbranch_execz .LBB26_25
.LBB26_24:                              ; =>This Inner Loop Header: Depth=1
	s_sleep 1
	global_store_dwordx2 v[0:1], v[10:11], off
	buffer_wbl2 sc0 sc1
	s_waitcnt vmcnt(0)
	global_atomic_cmpswap_x2 v[14:15], v5, v[8:11], s[2:3] offset:24 sc0 sc1
	s_waitcnt vmcnt(0)
	v_cmp_eq_u64_e32 vcc, v[14:15], v[10:11]
	s_or_b64 s[0:1], vcc, s[0:1]
	v_mov_b64_e32 v[10:11], v[14:15]
	s_andn2_b64 exec, exec, s[0:1]
	s_cbranch_execnz .LBB26_24
.LBB26_25:
	s_or_b64 exec, exec, s[6:7]
	v_mov_b32_e32 v1, s33
	s_mov_b64 s[0:1], 0
.LBB26_26:                              ; =>This Inner Loop Header: Depth=1
	scratch_load_ubyte v5, v1, off
	v_add_u32_e32 v0, 1, v1
	v_mov_b32_e32 v1, v0
	s_waitcnt vmcnt(0)
	v_cmp_eq_u16_e32 vcc, 0, v5
	s_or_b64 s[0:1], vcc, s[0:1]
	s_andn2_b64 exec, exec, s[0:1]
	s_cbranch_execnz .LBB26_26
; %bb.27:
	s_or_b64 exec, exec, s[0:1]
	v_mov_b32_e32 v5, s33
	v_cmp_ne_u32_e32 vcc, -1, v5
	s_cbranch_vccz .LBB26_112
; %bb.28:
	v_subrev_u32_e32 v0, s33, v0
	v_ashrrev_i32_e32 v1, 31, v0
	v_and_b32_e32 v38, 2, v12
	v_mov_b32_e32 v35, 0
	v_and_b32_e32 v8, -3, v12
	v_mov_b32_e32 v9, v13
	s_mov_b64 s[4:5], 0
	s_mov_b32 s16, 0
	s_movk_i32 s17, 0xff1f
	v_mov_b32_e32 v16, 2
	v_mov_b32_e32 v17, 1
	s_branch .LBB26_30
.LBB26_29:                              ;   in Loop: Header=BB26_30 Depth=1
	s_or_b64 exec, exec, s[10:11]
	v_sub_co_u32_e32 v0, vcc, v0, v48
	v_add_u32_e32 v5, v5, v48
	s_nop 0
	v_subb_co_u32_e32 v1, vcc, v1, v49, vcc
	v_cmp_eq_u64_e32 vcc, 0, v[0:1]
	s_or_b64 s[4:5], vcc, s[4:5]
	s_andn2_b64 exec, exec, s[4:5]
	s_cbranch_execz .LBB26_113
.LBB26_30:                              ; =>This Loop Header: Depth=1
                                        ;     Child Loop BB26_33 Depth 2
                                        ;     Child Loop BB26_41 Depth 2
	;; [unrolled: 1-line block ×11, first 2 shown]
	v_cmp_gt_u64_e32 vcc, 56, v[0:1]
                                        ; implicit-def: $vgpr10_vgpr11
                                        ; implicit-def: $sgpr6
	s_nop 1
	v_cndmask_b32_e32 v49, 0, v1, vcc
	v_cndmask_b32_e32 v48, 56, v0, vcc
	v_cmp_gt_u64_e32 vcc, 8, v[0:1]
	s_and_saveexec_b64 s[0:1], vcc
	s_xor_b64 s[0:1], exec, s[0:1]
	s_cbranch_execz .LBB26_36
; %bb.31:                               ;   in Loop: Header=BB26_30 Depth=1
	s_mov_b64 s[10:11], 0
	v_cmp_ne_u64_e32 vcc, 0, v[0:1]
	s_waitcnt vmcnt(0)
	v_mov_b64_e32 v[10:11], 0
	s_and_saveexec_b64 s[6:7], vcc
	s_cbranch_execz .LBB26_35
; %bb.32:                               ;   in Loop: Header=BB26_30 Depth=1
	v_lshlrev_b64 v[14:15], 3, v[48:49]
	v_mov_b64_e32 v[10:11], 0
	s_mov_b64 s[12:13], 0
	v_mov_b32_e32 v15, v5
.LBB26_33:                              ;   Parent Loop BB26_30 Depth=1
                                        ; =>  This Inner Loop Header: Depth=2
	scratch_load_ubyte v18, v15, off
	v_mov_b32_e32 v19, s16
	v_add_u32_e32 v15, 1, v15
	s_waitcnt vmcnt(0)
	v_and_b32_e32 v18, 0xffff, v18
	v_lshlrev_b64 v[18:19], s12, v[18:19]
	s_add_u32 s12, s12, 8
	s_addc_u32 s13, s13, 0
	v_cmp_eq_u32_e32 vcc, s12, v14
	v_or_b32_e32 v11, v19, v11
	s_or_b64 s[10:11], vcc, s[10:11]
	v_or_b32_e32 v10, v18, v10
	s_andn2_b64 exec, exec, s[10:11]
	s_cbranch_execnz .LBB26_33
; %bb.34:                               ;   in Loop: Header=BB26_30 Depth=1
	s_or_b64 exec, exec, s[10:11]
.LBB26_35:                              ;   in Loop: Header=BB26_30 Depth=1
	s_or_b64 exec, exec, s[6:7]
	s_mov_b32 s6, 0
.LBB26_36:                              ;   in Loop: Header=BB26_30 Depth=1
	s_or_saveexec_b64 s[0:1], s[0:1]
	v_mov_b32_e32 v15, s6
	v_mov_b32_e32 v14, v5
	s_xor_b64 exec, exec, s[0:1]
	s_cbranch_execz .LBB26_38
; %bb.37:                               ;   in Loop: Header=BB26_30 Depth=1
	scratch_load_dwordx2 v[10:11], v5, off
	v_add_u32_e32 v15, -8, v48
	s_waitcnt vmcnt(0)
	v_and_b32_e32 v14, 0xff, v11
	v_and_b32_e32 v18, 0xff00, v11
	;; [unrolled: 1-line block ×4, first 2 shown]
	v_or_b32_e32 v14, v14, v18
	v_or3_b32 v10, v10, 0, 0
	v_or3_b32 v11, v14, v19, v11
	v_add_u32_e32 v14, 8, v5
.LBB26_38:                              ;   in Loop: Header=BB26_30 Depth=1
	s_or_b64 exec, exec, s[0:1]
	v_cmp_gt_u32_e32 vcc, 8, v15
                                        ; implicit-def: $vgpr18_vgpr19
                                        ; implicit-def: $sgpr6
	s_and_saveexec_b64 s[0:1], vcc
	s_xor_b64 s[0:1], exec, s[0:1]
	s_cbranch_execz .LBB26_44
; %bb.39:                               ;   in Loop: Header=BB26_30 Depth=1
	v_cmp_ne_u32_e32 vcc, 0, v15
	v_mov_b64_e32 v[18:19], 0
	s_and_saveexec_b64 s[6:7], vcc
	s_cbranch_execz .LBB26_43
; %bb.40:                               ;   in Loop: Header=BB26_30 Depth=1
	s_mov_b32 s14, 0
	s_mov_b64 s[10:11], 0
	v_mov_b64_e32 v[18:19], 0
	s_mov_b64 s[12:13], 0
.LBB26_41:                              ;   Parent Loop BB26_30 Depth=1
                                        ; =>  This Inner Loop Header: Depth=2
	v_add_u32_e32 v20, s14, v14
	scratch_load_ubyte v20, v20, off
	v_mov_b32_e32 v21, s16
	s_add_i32 s14, s14, 1
	v_cmp_eq_u32_e32 vcc, s14, v15
	s_waitcnt vmcnt(0)
	v_and_b32_e32 v20, 0xffff, v20
	v_lshlrev_b64 v[20:21], s12, v[20:21]
	s_add_u32 s12, s12, 8
	s_addc_u32 s13, s13, 0
	v_or_b32_e32 v19, v21, v19
	s_or_b64 s[10:11], vcc, s[10:11]
	v_or_b32_e32 v18, v20, v18
	s_andn2_b64 exec, exec, s[10:11]
	s_cbranch_execnz .LBB26_41
; %bb.42:                               ;   in Loop: Header=BB26_30 Depth=1
	s_or_b64 exec, exec, s[10:11]
.LBB26_43:                              ;   in Loop: Header=BB26_30 Depth=1
	s_or_b64 exec, exec, s[6:7]
	s_mov_b32 s6, 0
                                        ; implicit-def: $vgpr15
.LBB26_44:                              ;   in Loop: Header=BB26_30 Depth=1
	s_or_saveexec_b64 s[0:1], s[0:1]
	v_mov_b32_e32 v22, s6
	s_xor_b64 exec, exec, s[0:1]
	s_cbranch_execz .LBB26_46
; %bb.45:                               ;   in Loop: Header=BB26_30 Depth=1
	scratch_load_dwordx2 v[18:19], v14, off
	v_add_u32_e32 v22, -8, v15
	v_add_u32_e32 v14, 8, v14
	s_waitcnt vmcnt(0)
	v_and_b32_e32 v15, 0xff, v19
	v_and_b32_e32 v20, 0xff00, v19
	;; [unrolled: 1-line block ×4, first 2 shown]
	v_or_b32_e32 v15, v15, v20
	v_or3_b32 v18, v18, 0, 0
	v_or3_b32 v19, v15, v21, v19
.LBB26_46:                              ;   in Loop: Header=BB26_30 Depth=1
	s_or_b64 exec, exec, s[0:1]
	v_cmp_gt_u32_e32 vcc, 8, v22
                                        ; implicit-def: $sgpr6
	s_and_saveexec_b64 s[0:1], vcc
	s_xor_b64 s[0:1], exec, s[0:1]
	s_cbranch_execz .LBB26_52
; %bb.47:                               ;   in Loop: Header=BB26_30 Depth=1
	v_cmp_ne_u32_e32 vcc, 0, v22
	v_mov_b64_e32 v[20:21], 0
	s_and_saveexec_b64 s[6:7], vcc
	s_cbranch_execz .LBB26_51
; %bb.48:                               ;   in Loop: Header=BB26_30 Depth=1
	s_mov_b32 s14, 0
	s_mov_b64 s[10:11], 0
	v_mov_b64_e32 v[20:21], 0
	s_mov_b64 s[12:13], 0
.LBB26_49:                              ;   Parent Loop BB26_30 Depth=1
                                        ; =>  This Inner Loop Header: Depth=2
	v_add_u32_e32 v15, s14, v14
	scratch_load_ubyte v15, v15, off
	v_mov_b32_e32 v25, s16
	s_add_i32 s14, s14, 1
	v_cmp_eq_u32_e32 vcc, s14, v22
	s_waitcnt vmcnt(0)
	v_and_b32_e32 v24, 0xffff, v15
	v_lshlrev_b64 v[24:25], s12, v[24:25]
	s_add_u32 s12, s12, 8
	s_addc_u32 s13, s13, 0
	v_or_b32_e32 v21, v25, v21
	s_or_b64 s[10:11], vcc, s[10:11]
	v_or_b32_e32 v20, v24, v20
	s_andn2_b64 exec, exec, s[10:11]
	s_cbranch_execnz .LBB26_49
; %bb.50:                               ;   in Loop: Header=BB26_30 Depth=1
	s_or_b64 exec, exec, s[10:11]
.LBB26_51:                              ;   in Loop: Header=BB26_30 Depth=1
	s_or_b64 exec, exec, s[6:7]
	s_mov_b32 s6, 0
                                        ; implicit-def: $vgpr22
.LBB26_52:                              ;   in Loop: Header=BB26_30 Depth=1
	s_or_saveexec_b64 s[0:1], s[0:1]
	v_mov_b32_e32 v15, s6
	s_xor_b64 exec, exec, s[0:1]
	s_cbranch_execz .LBB26_54
; %bb.53:                               ;   in Loop: Header=BB26_30 Depth=1
	scratch_load_dwordx2 v[20:21], v14, off
	v_add_u32_e32 v15, -8, v22
	v_add_u32_e32 v14, 8, v14
	s_waitcnt vmcnt(0)
	v_and_b32_e32 v22, 0xff, v21
	v_and_b32_e32 v23, 0xff00, v21
	;; [unrolled: 1-line block ×4, first 2 shown]
	v_or_b32_e32 v22, v22, v23
	v_or3_b32 v20, v20, 0, 0
	v_or3_b32 v21, v22, v24, v21
.LBB26_54:                              ;   in Loop: Header=BB26_30 Depth=1
	s_or_b64 exec, exec, s[0:1]
	v_cmp_gt_u32_e32 vcc, 8, v15
                                        ; implicit-def: $vgpr22_vgpr23
                                        ; implicit-def: $sgpr6
	s_and_saveexec_b64 s[0:1], vcc
	s_xor_b64 s[0:1], exec, s[0:1]
	s_cbranch_execz .LBB26_60
; %bb.55:                               ;   in Loop: Header=BB26_30 Depth=1
	v_cmp_ne_u32_e32 vcc, 0, v15
	v_mov_b64_e32 v[22:23], 0
	s_and_saveexec_b64 s[6:7], vcc
	s_cbranch_execz .LBB26_59
; %bb.56:                               ;   in Loop: Header=BB26_30 Depth=1
	s_mov_b32 s14, 0
	s_mov_b64 s[10:11], 0
	v_mov_b64_e32 v[22:23], 0
	s_mov_b64 s[12:13], 0
.LBB26_57:                              ;   Parent Loop BB26_30 Depth=1
                                        ; =>  This Inner Loop Header: Depth=2
	v_add_u32_e32 v24, s14, v14
	scratch_load_ubyte v24, v24, off
	v_mov_b32_e32 v25, s16
	s_add_i32 s14, s14, 1
	v_cmp_eq_u32_e32 vcc, s14, v15
	s_waitcnt vmcnt(0)
	v_and_b32_e32 v24, 0xffff, v24
	v_lshlrev_b64 v[24:25], s12, v[24:25]
	s_add_u32 s12, s12, 8
	s_addc_u32 s13, s13, 0
	v_or_b32_e32 v23, v25, v23
	s_or_b64 s[10:11], vcc, s[10:11]
	v_or_b32_e32 v22, v24, v22
	s_andn2_b64 exec, exec, s[10:11]
	s_cbranch_execnz .LBB26_57
; %bb.58:                               ;   in Loop: Header=BB26_30 Depth=1
	s_or_b64 exec, exec, s[10:11]
.LBB26_59:                              ;   in Loop: Header=BB26_30 Depth=1
	s_or_b64 exec, exec, s[6:7]
	s_mov_b32 s6, 0
                                        ; implicit-def: $vgpr15
.LBB26_60:                              ;   in Loop: Header=BB26_30 Depth=1
	s_or_saveexec_b64 s[0:1], s[0:1]
	v_mov_b32_e32 v26, s6
	s_xor_b64 exec, exec, s[0:1]
	s_cbranch_execz .LBB26_62
; %bb.61:                               ;   in Loop: Header=BB26_30 Depth=1
	scratch_load_dwordx2 v[22:23], v14, off
	v_add_u32_e32 v26, -8, v15
	v_add_u32_e32 v14, 8, v14
	s_waitcnt vmcnt(0)
	v_and_b32_e32 v15, 0xff, v23
	v_and_b32_e32 v24, 0xff00, v23
	;; [unrolled: 1-line block ×4, first 2 shown]
	v_or_b32_e32 v15, v15, v24
	v_or3_b32 v22, v22, 0, 0
	v_or3_b32 v23, v15, v25, v23
.LBB26_62:                              ;   in Loop: Header=BB26_30 Depth=1
	s_or_b64 exec, exec, s[0:1]
	v_cmp_gt_u32_e32 vcc, 8, v26
                                        ; implicit-def: $sgpr6
	s_and_saveexec_b64 s[0:1], vcc
	s_xor_b64 s[0:1], exec, s[0:1]
	s_cbranch_execz .LBB26_68
; %bb.63:                               ;   in Loop: Header=BB26_30 Depth=1
	v_cmp_ne_u32_e32 vcc, 0, v26
	v_mov_b64_e32 v[24:25], 0
	s_and_saveexec_b64 s[6:7], vcc
	s_cbranch_execz .LBB26_67
; %bb.64:                               ;   in Loop: Header=BB26_30 Depth=1
	s_mov_b32 s14, 0
	s_mov_b64 s[10:11], 0
	v_mov_b64_e32 v[24:25], 0
	s_mov_b64 s[12:13], 0
.LBB26_65:                              ;   Parent Loop BB26_30 Depth=1
                                        ; =>  This Inner Loop Header: Depth=2
	v_add_u32_e32 v15, s14, v14
	scratch_load_ubyte v15, v15, off
	v_mov_b32_e32 v29, s16
	s_add_i32 s14, s14, 1
	v_cmp_eq_u32_e32 vcc, s14, v26
	s_waitcnt vmcnt(0)
	v_and_b32_e32 v28, 0xffff, v15
	v_lshlrev_b64 v[28:29], s12, v[28:29]
	s_add_u32 s12, s12, 8
	s_addc_u32 s13, s13, 0
	v_or_b32_e32 v25, v29, v25
	s_or_b64 s[10:11], vcc, s[10:11]
	v_or_b32_e32 v24, v28, v24
	s_andn2_b64 exec, exec, s[10:11]
	s_cbranch_execnz .LBB26_65
; %bb.66:                               ;   in Loop: Header=BB26_30 Depth=1
	s_or_b64 exec, exec, s[10:11]
.LBB26_67:                              ;   in Loop: Header=BB26_30 Depth=1
	s_or_b64 exec, exec, s[6:7]
	s_mov_b32 s6, 0
                                        ; implicit-def: $vgpr26
.LBB26_68:                              ;   in Loop: Header=BB26_30 Depth=1
	s_or_saveexec_b64 s[0:1], s[0:1]
	v_mov_b32_e32 v15, s6
	s_xor_b64 exec, exec, s[0:1]
	s_cbranch_execz .LBB26_70
; %bb.69:                               ;   in Loop: Header=BB26_30 Depth=1
	scratch_load_dwordx2 v[24:25], v14, off
	v_add_u32_e32 v15, -8, v26
	v_add_u32_e32 v14, 8, v14
	s_waitcnt vmcnt(0)
	v_and_b32_e32 v26, 0xff, v25
	v_and_b32_e32 v27, 0xff00, v25
	;; [unrolled: 1-line block ×4, first 2 shown]
	v_or_b32_e32 v26, v26, v27
	v_or3_b32 v24, v24, 0, 0
	v_or3_b32 v25, v26, v28, v25
.LBB26_70:                              ;   in Loop: Header=BB26_30 Depth=1
	s_or_b64 exec, exec, s[0:1]
	v_cmp_gt_u32_e32 vcc, 8, v15
                                        ; implicit-def: $vgpr26_vgpr27
                                        ; implicit-def: $sgpr6
	s_and_saveexec_b64 s[0:1], vcc
	s_xor_b64 s[0:1], exec, s[0:1]
	s_cbranch_execz .LBB26_76
; %bb.71:                               ;   in Loop: Header=BB26_30 Depth=1
	v_cmp_ne_u32_e32 vcc, 0, v15
	v_mov_b64_e32 v[26:27], 0
	s_and_saveexec_b64 s[6:7], vcc
	s_cbranch_execz .LBB26_75
; %bb.72:                               ;   in Loop: Header=BB26_30 Depth=1
	s_mov_b32 s14, 0
	s_mov_b64 s[10:11], 0
	v_mov_b64_e32 v[26:27], 0
	s_mov_b64 s[12:13], 0
.LBB26_73:                              ;   Parent Loop BB26_30 Depth=1
                                        ; =>  This Inner Loop Header: Depth=2
	v_add_u32_e32 v28, s14, v14
	scratch_load_ubyte v28, v28, off
	v_mov_b32_e32 v29, s16
	s_add_i32 s14, s14, 1
	v_cmp_eq_u32_e32 vcc, s14, v15
	s_waitcnt vmcnt(0)
	v_and_b32_e32 v28, 0xffff, v28
	v_lshlrev_b64 v[28:29], s12, v[28:29]
	s_add_u32 s12, s12, 8
	s_addc_u32 s13, s13, 0
	v_or_b32_e32 v27, v29, v27
	s_or_b64 s[10:11], vcc, s[10:11]
	v_or_b32_e32 v26, v28, v26
	s_andn2_b64 exec, exec, s[10:11]
	s_cbranch_execnz .LBB26_73
; %bb.74:                               ;   in Loop: Header=BB26_30 Depth=1
	s_or_b64 exec, exec, s[10:11]
.LBB26_75:                              ;   in Loop: Header=BB26_30 Depth=1
	s_or_b64 exec, exec, s[6:7]
	s_mov_b32 s6, 0
                                        ; implicit-def: $vgpr15
.LBB26_76:                              ;   in Loop: Header=BB26_30 Depth=1
	s_or_saveexec_b64 s[0:1], s[0:1]
	v_mov_b32_e32 v30, s6
	s_xor_b64 exec, exec, s[0:1]
	s_cbranch_execz .LBB26_78
; %bb.77:                               ;   in Loop: Header=BB26_30 Depth=1
	scratch_load_dwordx2 v[26:27], v14, off
	v_add_u32_e32 v30, -8, v15
	v_add_u32_e32 v14, 8, v14
	s_waitcnt vmcnt(0)
	v_and_b32_e32 v15, 0xff, v27
	v_and_b32_e32 v28, 0xff00, v27
	;; [unrolled: 1-line block ×4, first 2 shown]
	v_or_b32_e32 v15, v15, v28
	v_or3_b32 v26, v26, 0, 0
	v_or3_b32 v27, v15, v29, v27
.LBB26_78:                              ;   in Loop: Header=BB26_30 Depth=1
	s_or_b64 exec, exec, s[0:1]
	v_cmp_gt_u32_e32 vcc, 8, v30
	s_and_saveexec_b64 s[0:1], vcc
	s_xor_b64 s[0:1], exec, s[0:1]
	s_cbranch_execz .LBB26_84
; %bb.79:                               ;   in Loop: Header=BB26_30 Depth=1
	v_cmp_ne_u32_e32 vcc, 0, v30
	v_mov_b64_e32 v[28:29], 0
	s_and_saveexec_b64 s[6:7], vcc
	s_cbranch_execz .LBB26_83
; %bb.80:                               ;   in Loop: Header=BB26_30 Depth=1
	s_mov_b64 s[10:11], 0
	v_mov_b64_e32 v[28:29], 0
	s_mov_b64 s[12:13], 0
.LBB26_81:                              ;   Parent Loop BB26_30 Depth=1
                                        ; =>  This Inner Loop Header: Depth=2
	scratch_load_ubyte v15, v14, off
	v_mov_b32_e32 v33, s16
	v_add_u32_e32 v30, -1, v30
	v_cmp_eq_u32_e32 vcc, 0, v30
	v_add_u32_e32 v14, 1, v14
	s_waitcnt vmcnt(0)
	v_and_b32_e32 v32, 0xffff, v15
	v_lshlrev_b64 v[32:33], s12, v[32:33]
	s_add_u32 s12, s12, 8
	s_addc_u32 s13, s13, 0
	v_or_b32_e32 v29, v33, v29
	s_or_b64 s[10:11], vcc, s[10:11]
	v_or_b32_e32 v28, v32, v28
	s_andn2_b64 exec, exec, s[10:11]
	s_cbranch_execnz .LBB26_81
; %bb.82:                               ;   in Loop: Header=BB26_30 Depth=1
	s_or_b64 exec, exec, s[10:11]
.LBB26_83:                              ;   in Loop: Header=BB26_30 Depth=1
	s_or_b64 exec, exec, s[6:7]
                                        ; implicit-def: $vgpr14
.LBB26_84:                              ;   in Loop: Header=BB26_30 Depth=1
	s_andn2_saveexec_b64 s[0:1], s[0:1]
	s_cbranch_execz .LBB26_86
; %bb.85:                               ;   in Loop: Header=BB26_30 Depth=1
	scratch_load_dwordx2 v[14:15], v14, off
	s_waitcnt vmcnt(0)
	v_and_b32_e32 v28, 0xff, v15
	v_and_b32_e32 v29, 0xff00, v15
	;; [unrolled: 1-line block ×4, first 2 shown]
	v_or_b32_e32 v28, v28, v29
	v_or3_b32 v29, v28, v30, v15
	v_or3_b32 v28, v14, 0, 0
.LBB26_86:                              ;   in Loop: Header=BB26_30 Depth=1
	s_or_b64 exec, exec, s[0:1]
	v_readfirstlane_b32 s0, v52
	v_mov_b64_e32 v[14:15], 0
	s_nop 0
	v_cmp_eq_u32_e64 s[0:1], s0, v52
	s_and_saveexec_b64 s[6:7], s[0:1]
	s_cbranch_execz .LBB26_92
; %bb.87:                               ;   in Loop: Header=BB26_30 Depth=1
	global_load_dwordx2 v[32:33], v35, s[2:3] offset:24 sc0 sc1
	s_waitcnt vmcnt(0)
	buffer_inv sc0 sc1
	global_load_dwordx2 v[14:15], v35, s[2:3] offset:40
	global_load_dwordx2 v[30:31], v35, s[2:3]
	s_waitcnt vmcnt(1)
	v_and_b32_e32 v14, v14, v32
	v_and_b32_e32 v15, v15, v33
	v_mul_lo_u32 v15, v15, 24
	v_mul_hi_u32 v39, v14, 24
	v_add_u32_e32 v15, v39, v15
	v_mul_lo_u32 v14, v14, 24
	s_waitcnt vmcnt(0)
	v_lshl_add_u64 v[14:15], v[30:31], 0, v[14:15]
	global_load_dwordx2 v[30:31], v[14:15], off sc0 sc1
	s_waitcnt vmcnt(0)
	global_atomic_cmpswap_x2 v[14:15], v35, v[30:33], s[2:3] offset:24 sc0 sc1
	s_waitcnt vmcnt(0)
	buffer_inv sc0 sc1
	v_cmp_ne_u64_e32 vcc, v[14:15], v[32:33]
	s_and_saveexec_b64 s[10:11], vcc
	s_cbranch_execz .LBB26_91
; %bb.88:                               ;   in Loop: Header=BB26_30 Depth=1
	s_mov_b64 s[12:13], 0
.LBB26_89:                              ;   Parent Loop BB26_30 Depth=1
                                        ; =>  This Inner Loop Header: Depth=2
	s_sleep 1
	global_load_dwordx2 v[30:31], v35, s[2:3] offset:40
	global_load_dwordx2 v[50:51], v35, s[2:3]
	v_mov_b64_e32 v[32:33], v[14:15]
	s_waitcnt vmcnt(1)
	v_and_b32_e32 v14, v30, v32
	s_waitcnt vmcnt(0)
	v_mad_u64_u32 v[14:15], s[14:15], v14, 24, v[50:51]
	v_and_b32_e32 v31, v31, v33
	v_mov_b32_e32 v30, v15
	v_mad_u64_u32 v[30:31], s[14:15], v31, 24, v[30:31]
	v_mov_b32_e32 v15, v30
	global_load_dwordx2 v[30:31], v[14:15], off sc0 sc1
	s_waitcnt vmcnt(0)
	global_atomic_cmpswap_x2 v[14:15], v35, v[30:33], s[2:3] offset:24 sc0 sc1
	s_waitcnt vmcnt(0)
	buffer_inv sc0 sc1
	v_cmp_eq_u64_e32 vcc, v[14:15], v[32:33]
	s_or_b64 s[12:13], vcc, s[12:13]
	s_andn2_b64 exec, exec, s[12:13]
	s_cbranch_execnz .LBB26_89
; %bb.90:                               ;   in Loop: Header=BB26_30 Depth=1
	s_or_b64 exec, exec, s[12:13]
.LBB26_91:                              ;   in Loop: Header=BB26_30 Depth=1
	s_or_b64 exec, exec, s[10:11]
.LBB26_92:                              ;   in Loop: Header=BB26_30 Depth=1
	s_or_b64 exec, exec, s[6:7]
	global_load_dwordx2 v[50:51], v35, s[2:3] offset:40
	global_load_dwordx4 v[30:33], v35, s[2:3]
	v_readfirstlane_b32 s6, v14
	v_readfirstlane_b32 s7, v15
	s_mov_b64 s[10:11], exec
	s_waitcnt vmcnt(1)
	v_readfirstlane_b32 s12, v50
	v_readfirstlane_b32 s13, v51
	s_and_b64 s[12:13], s[6:7], s[12:13]
	s_mul_i32 s14, s13, 24
	s_mul_hi_u32 s15, s12, 24
	s_add_i32 s15, s15, s14
	s_mul_i32 s14, s12, 24
	s_waitcnt vmcnt(0)
	v_lshl_add_u64 v[50:51], v[30:31], 0, s[14:15]
	s_and_saveexec_b64 s[14:15], s[0:1]
	s_cbranch_execz .LBB26_94
; %bb.93:                               ;   in Loop: Header=BB26_30 Depth=1
	v_mov_b64_e32 v[14:15], s[10:11]
	global_store_dwordx4 v[50:51], v[14:17], off offset:8
.LBB26_94:                              ;   in Loop: Header=BB26_30 Depth=1
	s_or_b64 exec, exec, s[14:15]
	s_lshl_b64 s[10:11], s[12:13], 12
	v_lshl_add_u64 v[14:15], v[32:33], 0, s[10:11]
	v_or_b32_e32 v32, 0, v9
	v_cmp_lt_u64_e32 vcc, 56, v[0:1]
	v_or_b32_e32 v33, v8, v38
	v_readfirstlane_b32 s10, v14
	v_cndmask_b32_e32 v9, v32, v9, vcc
	v_lshl_add_u32 v32, v48, 2, 28
	v_cndmask_b32_e32 v8, v33, v8, vcc
	v_and_b32_e32 v32, 0x1e0, v32
	v_and_or_b32 v8, v8, s17, v32
	v_readfirstlane_b32 s11, v15
	s_nop 4
	global_store_dwordx4 v34, v[8:11], s[10:11]
	global_store_dwordx4 v34, v[18:21], s[10:11] offset:16
	global_store_dwordx4 v34, v[22:25], s[10:11] offset:32
	;; [unrolled: 1-line block ×3, first 2 shown]
	s_and_saveexec_b64 s[10:11], s[0:1]
	s_cbranch_execz .LBB26_102
; %bb.95:                               ;   in Loop: Header=BB26_30 Depth=1
	global_load_dwordx2 v[22:23], v35, s[2:3] offset:32 sc0 sc1
	global_load_dwordx2 v[8:9], v35, s[2:3] offset:40
	v_mov_b32_e32 v20, s6
	v_mov_b32_e32 v21, s7
	s_waitcnt vmcnt(0)
	v_readfirstlane_b32 s12, v8
	v_readfirstlane_b32 s13, v9
	s_and_b64 s[12:13], s[12:13], s[6:7]
	s_mul_i32 s13, s13, 24
	s_mul_hi_u32 s14, s12, 24
	s_mul_i32 s12, s12, 24
	s_add_i32 s13, s14, s13
	v_lshl_add_u64 v[18:19], v[30:31], 0, s[12:13]
	global_store_dwordx2 v[18:19], v[22:23], off
	buffer_wbl2 sc0 sc1
	s_waitcnt vmcnt(0)
	global_atomic_cmpswap_x2 v[10:11], v35, v[20:23], s[2:3] offset:32 sc0 sc1
	s_waitcnt vmcnt(0)
	v_cmp_ne_u64_e32 vcc, v[10:11], v[22:23]
	s_and_saveexec_b64 s[12:13], vcc
	s_cbranch_execz .LBB26_98
; %bb.96:                               ;   in Loop: Header=BB26_30 Depth=1
	s_mov_b64 s[14:15], 0
.LBB26_97:                              ;   Parent Loop BB26_30 Depth=1
                                        ; =>  This Inner Loop Header: Depth=2
	s_sleep 1
	global_store_dwordx2 v[18:19], v[10:11], off
	v_mov_b32_e32 v8, s6
	v_mov_b32_e32 v9, s7
	buffer_wbl2 sc0 sc1
	s_waitcnt vmcnt(0)
	global_atomic_cmpswap_x2 v[8:9], v35, v[8:11], s[2:3] offset:32 sc0 sc1
	s_waitcnt vmcnt(0)
	v_cmp_eq_u64_e32 vcc, v[8:9], v[10:11]
	s_or_b64 s[14:15], vcc, s[14:15]
	v_mov_b64_e32 v[10:11], v[8:9]
	s_andn2_b64 exec, exec, s[14:15]
	s_cbranch_execnz .LBB26_97
.LBB26_98:                              ;   in Loop: Header=BB26_30 Depth=1
	s_or_b64 exec, exec, s[12:13]
	global_load_dwordx2 v[8:9], v35, s[2:3] offset:16
	s_mov_b64 s[14:15], exec
	v_mbcnt_lo_u32_b32 v10, s14, 0
	v_mbcnt_hi_u32_b32 v10, s15, v10
	v_cmp_eq_u32_e32 vcc, 0, v10
	s_and_saveexec_b64 s[12:13], vcc
	s_cbranch_execz .LBB26_100
; %bb.99:                               ;   in Loop: Header=BB26_30 Depth=1
	s_bcnt1_i32_b64 s14, s[14:15]
	v_mov_b32_e32 v10, s14
	v_mov_b32_e32 v11, v35
	buffer_wbl2 sc0 sc1
	s_waitcnt vmcnt(0)
	global_atomic_add_x2 v[8:9], v[10:11], off offset:8 sc1
.LBB26_100:                             ;   in Loop: Header=BB26_30 Depth=1
	s_or_b64 exec, exec, s[12:13]
	s_waitcnt vmcnt(0)
	global_load_dwordx2 v[10:11], v[8:9], off offset:16
	s_waitcnt vmcnt(0)
	v_cmp_eq_u64_e32 vcc, 0, v[10:11]
	s_cbranch_vccnz .LBB26_102
; %bb.101:                              ;   in Loop: Header=BB26_30 Depth=1
	global_load_dword v8, v[8:9], off offset:24
	v_mov_b32_e32 v9, v35
	buffer_wbl2 sc0 sc1
	s_waitcnt vmcnt(0)
	global_store_dwordx2 v[10:11], v[8:9], off sc0 sc1
	v_and_b32_e32 v8, 0xffffff, v8
	s_nop 0
	v_readfirstlane_b32 m0, v8
	s_sendmsg sendmsg(MSG_INTERRUPT)
.LBB26_102:                             ;   in Loop: Header=BB26_30 Depth=1
	s_or_b64 exec, exec, s[10:11]
	v_lshl_add_u64 v[8:9], v[14:15], 0, v[34:35]
	s_branch .LBB26_106
.LBB26_103:                             ;   in Loop: Header=BB26_106 Depth=2
	s_or_b64 exec, exec, s[10:11]
	v_readfirstlane_b32 s10, v10
	s_cmp_eq_u32 s10, 0
	s_cbranch_scc1 .LBB26_105
; %bb.104:                              ;   in Loop: Header=BB26_106 Depth=2
	s_sleep 1
	s_cbranch_execnz .LBB26_106
	s_branch .LBB26_108
.LBB26_105:                             ;   in Loop: Header=BB26_30 Depth=1
	s_branch .LBB26_108
.LBB26_106:                             ;   Parent Loop BB26_30 Depth=1
                                        ; =>  This Inner Loop Header: Depth=2
	v_mov_b32_e32 v10, 1
	s_and_saveexec_b64 s[10:11], s[0:1]
	s_cbranch_execz .LBB26_103
; %bb.107:                              ;   in Loop: Header=BB26_106 Depth=2
	global_load_dword v10, v[50:51], off offset:20 sc0 sc1
	s_waitcnt vmcnt(0)
	buffer_inv sc0 sc1
	v_and_b32_e32 v10, 1, v10
	s_branch .LBB26_103
.LBB26_108:                             ;   in Loop: Header=BB26_30 Depth=1
	global_load_dwordx4 v[8:11], v[8:9], off
	s_and_saveexec_b64 s[10:11], s[0:1]
	s_cbranch_execz .LBB26_29
; %bb.109:                              ;   in Loop: Header=BB26_30 Depth=1
	global_load_dwordx2 v[10:11], v35, s[2:3] offset:40
	global_load_dwordx2 v[14:15], v35, s[2:3] offset:24 sc0 sc1
	global_load_dwordx2 v[22:23], v35, s[2:3]
	s_waitcnt vmcnt(2)
	v_lshl_add_u64 v[18:19], v[10:11], 0, 1
	v_lshl_add_u64 v[24:25], v[18:19], 0, s[6:7]
	v_cmp_eq_u64_e32 vcc, 0, v[24:25]
	s_waitcnt vmcnt(1)
	v_mov_b32_e32 v20, v14
	v_cndmask_b32_e32 v19, v25, v19, vcc
	v_cndmask_b32_e32 v18, v24, v18, vcc
	v_and_b32_e32 v11, v19, v11
	v_and_b32_e32 v10, v18, v10
	v_mul_lo_u32 v11, v11, 24
	v_mul_hi_u32 v21, v10, 24
	v_mul_lo_u32 v10, v10, 24
	v_add_u32_e32 v11, v21, v11
	s_waitcnt vmcnt(0)
	v_lshl_add_u64 v[10:11], v[22:23], 0, v[10:11]
	global_store_dwordx2 v[10:11], v[14:15], off
	v_mov_b32_e32 v21, v15
	buffer_wbl2 sc0 sc1
	s_waitcnt vmcnt(0)
	global_atomic_cmpswap_x2 v[20:21], v35, v[18:21], s[2:3] offset:24 sc0 sc1
	s_waitcnt vmcnt(0)
	v_cmp_ne_u64_e32 vcc, v[20:21], v[14:15]
	s_and_b64 exec, exec, vcc
	s_cbranch_execz .LBB26_29
; %bb.110:                              ;   in Loop: Header=BB26_30 Depth=1
	s_mov_b64 s[0:1], 0
.LBB26_111:                             ;   Parent Loop BB26_30 Depth=1
                                        ; =>  This Inner Loop Header: Depth=2
	s_sleep 1
	global_store_dwordx2 v[10:11], v[20:21], off
	buffer_wbl2 sc0 sc1
	s_waitcnt vmcnt(0)
	global_atomic_cmpswap_x2 v[14:15], v35, v[18:21], s[2:3] offset:24 sc0 sc1
	s_waitcnt vmcnt(0)
	v_cmp_eq_u64_e32 vcc, v[14:15], v[20:21]
	s_or_b64 s[0:1], vcc, s[0:1]
	v_mov_b64_e32 v[20:21], v[14:15]
	s_andn2_b64 exec, exec, s[0:1]
	s_cbranch_execnz .LBB26_111
	s_branch .LBB26_29
.LBB26_112:
                                        ; implicit-def: $vgpr8_vgpr9
	s_cbranch_execnz .LBB26_114
	s_branch .LBB26_140
.LBB26_113:
	s_or_b64 exec, exec, s[4:5]
	s_branch .LBB26_140
.LBB26_114:
	v_readfirstlane_b32 s0, v52
	v_mov_b64_e32 v[0:1], 0
	s_nop 0
	v_cmp_eq_u32_e64 s[0:1], s0, v52
	s_and_saveexec_b64 s[4:5], s[0:1]
	s_cbranch_execz .LBB26_120
; %bb.115:
	v_mov_b32_e32 v5, 0
	global_load_dwordx2 v[10:11], v5, s[2:3] offset:24 sc0 sc1
	s_waitcnt vmcnt(0)
	buffer_inv sc0 sc1
	global_load_dwordx2 v[0:1], v5, s[2:3] offset:40
	global_load_dwordx2 v[8:9], v5, s[2:3]
	s_waitcnt vmcnt(1)
	v_and_b32_e32 v0, v0, v10
	v_and_b32_e32 v1, v1, v11
	v_mul_lo_u32 v1, v1, 24
	v_mul_hi_u32 v14, v0, 24
	v_add_u32_e32 v1, v14, v1
	v_mul_lo_u32 v0, v0, 24
	s_waitcnt vmcnt(0)
	v_lshl_add_u64 v[0:1], v[8:9], 0, v[0:1]
	global_load_dwordx2 v[8:9], v[0:1], off sc0 sc1
	s_waitcnt vmcnt(0)
	global_atomic_cmpswap_x2 v[0:1], v5, v[8:11], s[2:3] offset:24 sc0 sc1
	s_waitcnt vmcnt(0)
	buffer_inv sc0 sc1
	v_cmp_ne_u64_e32 vcc, v[0:1], v[10:11]
	s_and_saveexec_b64 s[6:7], vcc
	s_cbranch_execz .LBB26_119
; %bb.116:
	s_mov_b64 s[10:11], 0
.LBB26_117:                             ; =>This Inner Loop Header: Depth=1
	s_sleep 1
	global_load_dwordx2 v[8:9], v5, s[2:3] offset:40
	global_load_dwordx2 v[14:15], v5, s[2:3]
	v_mov_b64_e32 v[10:11], v[0:1]
	s_waitcnt vmcnt(1)
	v_and_b32_e32 v0, v8, v10
	s_waitcnt vmcnt(0)
	v_mad_u64_u32 v[0:1], s[12:13], v0, 24, v[14:15]
	v_and_b32_e32 v9, v9, v11
	v_mov_b32_e32 v8, v1
	v_mad_u64_u32 v[8:9], s[12:13], v9, 24, v[8:9]
	v_mov_b32_e32 v1, v8
	global_load_dwordx2 v[8:9], v[0:1], off sc0 sc1
	s_waitcnt vmcnt(0)
	global_atomic_cmpswap_x2 v[0:1], v5, v[8:11], s[2:3] offset:24 sc0 sc1
	s_waitcnt vmcnt(0)
	buffer_inv sc0 sc1
	v_cmp_eq_u64_e32 vcc, v[0:1], v[10:11]
	s_or_b64 s[10:11], vcc, s[10:11]
	s_andn2_b64 exec, exec, s[10:11]
	s_cbranch_execnz .LBB26_117
; %bb.118:
	s_or_b64 exec, exec, s[10:11]
.LBB26_119:
	s_or_b64 exec, exec, s[6:7]
.LBB26_120:
	s_or_b64 exec, exec, s[4:5]
	v_mov_b32_e32 v35, 0
	global_load_dwordx2 v[14:15], v35, s[2:3] offset:40
	global_load_dwordx4 v[8:11], v35, s[2:3]
	v_readfirstlane_b32 s4, v0
	v_readfirstlane_b32 s5, v1
	s_mov_b64 s[6:7], exec
	s_waitcnt vmcnt(1)
	v_readfirstlane_b32 s10, v14
	v_readfirstlane_b32 s11, v15
	s_and_b64 s[10:11], s[4:5], s[10:11]
	s_mul_i32 s12, s11, 24
	s_mul_hi_u32 s13, s10, 24
	s_add_i32 s13, s13, s12
	s_mul_i32 s12, s10, 24
	s_waitcnt vmcnt(0)
	v_lshl_add_u64 v[0:1], v[8:9], 0, s[12:13]
	s_and_saveexec_b64 s[12:13], s[0:1]
	s_cbranch_execz .LBB26_122
; %bb.121:
	v_mov_b64_e32 v[14:15], s[6:7]
	v_mov_b32_e32 v16, 2
	v_mov_b32_e32 v17, 1
	global_store_dwordx4 v[0:1], v[14:17], off offset:8
.LBB26_122:
	s_or_b64 exec, exec, s[12:13]
	s_lshl_b64 s[6:7], s[10:11], 12
	v_lshl_add_u64 v[16:17], v[10:11], 0, s[6:7]
	s_movk_i32 s6, 0xff1f
	s_mov_b32 s12, 0
	v_and_or_b32 v12, v12, s6, 32
	v_mov_b32_e32 v14, v35
	v_mov_b32_e32 v15, v35
	v_readfirstlane_b32 s6, v16
	v_readfirstlane_b32 s7, v17
	s_mov_b32 s13, s12
	s_mov_b32 s14, s12
	;; [unrolled: 1-line block ×3, first 2 shown]
	s_nop 1
	global_store_dwordx4 v34, v[12:15], s[6:7]
	v_mov_b64_e32 v[10:11], s[12:13]
	s_nop 0
	v_mov_b64_e32 v[12:13], s[14:15]
	global_store_dwordx4 v34, v[10:13], s[6:7] offset:16
	global_store_dwordx4 v34, v[10:13], s[6:7] offset:32
	;; [unrolled: 1-line block ×3, first 2 shown]
	s_and_saveexec_b64 s[6:7], s[0:1]
	s_cbranch_execz .LBB26_130
; %bb.123:
	v_mov_b32_e32 v5, 0
	global_load_dwordx2 v[20:21], v5, s[2:3] offset:32 sc0 sc1
	global_load_dwordx2 v[10:11], v5, s[2:3] offset:40
	v_mov_b32_e32 v18, s4
	v_mov_b32_e32 v19, s5
	s_waitcnt vmcnt(0)
	v_readfirstlane_b32 s10, v10
	v_readfirstlane_b32 s11, v11
	s_and_b64 s[10:11], s[10:11], s[4:5]
	s_mul_i32 s11, s11, 24
	s_mul_hi_u32 s12, s10, 24
	s_mul_i32 s10, s10, 24
	s_add_i32 s11, s12, s11
	v_lshl_add_u64 v[12:13], v[8:9], 0, s[10:11]
	global_store_dwordx2 v[12:13], v[20:21], off
	buffer_wbl2 sc0 sc1
	s_waitcnt vmcnt(0)
	global_atomic_cmpswap_x2 v[10:11], v5, v[18:21], s[2:3] offset:32 sc0 sc1
	s_waitcnt vmcnt(0)
	v_cmp_ne_u64_e32 vcc, v[10:11], v[20:21]
	s_and_saveexec_b64 s[10:11], vcc
	s_cbranch_execz .LBB26_126
; %bb.124:
	s_mov_b64 s[12:13], 0
.LBB26_125:                             ; =>This Inner Loop Header: Depth=1
	s_sleep 1
	global_store_dwordx2 v[12:13], v[10:11], off
	v_mov_b32_e32 v8, s4
	v_mov_b32_e32 v9, s5
	buffer_wbl2 sc0 sc1
	s_waitcnt vmcnt(0)
	global_atomic_cmpswap_x2 v[8:9], v5, v[8:11], s[2:3] offset:32 sc0 sc1
	s_waitcnt vmcnt(0)
	v_cmp_eq_u64_e32 vcc, v[8:9], v[10:11]
	s_or_b64 s[12:13], vcc, s[12:13]
	v_mov_b64_e32 v[10:11], v[8:9]
	s_andn2_b64 exec, exec, s[12:13]
	s_cbranch_execnz .LBB26_125
.LBB26_126:
	s_or_b64 exec, exec, s[10:11]
	v_mov_b32_e32 v11, 0
	global_load_dwordx2 v[8:9], v11, s[2:3] offset:16
	s_mov_b64 s[10:11], exec
	v_mbcnt_lo_u32_b32 v5, s10, 0
	v_mbcnt_hi_u32_b32 v5, s11, v5
	v_cmp_eq_u32_e32 vcc, 0, v5
	s_and_saveexec_b64 s[12:13], vcc
	s_cbranch_execz .LBB26_128
; %bb.127:
	s_bcnt1_i32_b64 s10, s[10:11]
	v_mov_b32_e32 v10, s10
	buffer_wbl2 sc0 sc1
	s_waitcnt vmcnt(0)
	global_atomic_add_x2 v[8:9], v[10:11], off offset:8 sc1
.LBB26_128:
	s_or_b64 exec, exec, s[12:13]
	s_waitcnt vmcnt(0)
	global_load_dwordx2 v[10:11], v[8:9], off offset:16
	s_waitcnt vmcnt(0)
	v_cmp_eq_u64_e32 vcc, 0, v[10:11]
	s_cbranch_vccnz .LBB26_130
; %bb.129:
	global_load_dword v8, v[8:9], off offset:24
	v_mov_b32_e32 v9, 0
	s_waitcnt vmcnt(0)
	v_and_b32_e32 v5, 0xffffff, v8
	s_nop 0
	v_readfirstlane_b32 m0, v5
	buffer_wbl2 sc0 sc1
	global_store_dwordx2 v[10:11], v[8:9], off sc0 sc1
	s_sendmsg sendmsg(MSG_INTERRUPT)
.LBB26_130:
	s_or_b64 exec, exec, s[6:7]
	v_lshl_add_u64 v[8:9], v[16:17], 0, v[34:35]
	s_branch .LBB26_134
.LBB26_131:                             ;   in Loop: Header=BB26_134 Depth=1
	s_or_b64 exec, exec, s[6:7]
	v_readfirstlane_b32 s6, v5
	s_cmp_eq_u32 s6, 0
	s_cbranch_scc1 .LBB26_133
; %bb.132:                              ;   in Loop: Header=BB26_134 Depth=1
	s_sleep 1
	s_cbranch_execnz .LBB26_134
	s_branch .LBB26_136
.LBB26_133:
	s_branch .LBB26_136
.LBB26_134:                             ; =>This Inner Loop Header: Depth=1
	v_mov_b32_e32 v5, 1
	s_and_saveexec_b64 s[6:7], s[0:1]
	s_cbranch_execz .LBB26_131
; %bb.135:                              ;   in Loop: Header=BB26_134 Depth=1
	global_load_dword v5, v[0:1], off offset:20 sc0 sc1
	s_waitcnt vmcnt(0)
	buffer_inv sc0 sc1
	v_and_b32_e32 v5, 1, v5
	s_branch .LBB26_131
.LBB26_136:
	global_load_dwordx2 v[8:9], v[8:9], off
	s_and_saveexec_b64 s[6:7], s[0:1]
	s_cbranch_execz .LBB26_139
; %bb.137:
	v_mov_b32_e32 v5, 0
	global_load_dwordx2 v[0:1], v5, s[2:3] offset:40
	global_load_dwordx2 v[14:15], v5, s[2:3] offset:24 sc0 sc1
	global_load_dwordx2 v[16:17], v5, s[2:3]
	s_mov_b64 s[0:1], 0
	s_waitcnt vmcnt(2)
	v_lshl_add_u64 v[10:11], v[0:1], 0, 1
	v_lshl_add_u64 v[18:19], v[10:11], 0, s[4:5]
	v_cmp_eq_u64_e32 vcc, 0, v[18:19]
	s_waitcnt vmcnt(1)
	v_mov_b32_e32 v12, v14
	v_cndmask_b32_e32 v11, v19, v11, vcc
	v_cndmask_b32_e32 v10, v18, v10, vcc
	v_and_b32_e32 v1, v11, v1
	v_and_b32_e32 v0, v10, v0
	v_mul_lo_u32 v1, v1, 24
	v_mul_hi_u32 v13, v0, 24
	v_mul_lo_u32 v0, v0, 24
	v_add_u32_e32 v1, v13, v1
	s_waitcnt vmcnt(0)
	v_lshl_add_u64 v[0:1], v[16:17], 0, v[0:1]
	global_store_dwordx2 v[0:1], v[14:15], off
	v_mov_b32_e32 v13, v15
	buffer_wbl2 sc0 sc1
	s_waitcnt vmcnt(0)
	global_atomic_cmpswap_x2 v[12:13], v5, v[10:13], s[2:3] offset:24 sc0 sc1
	s_waitcnt vmcnt(0)
	v_cmp_ne_u64_e32 vcc, v[12:13], v[14:15]
	s_and_b64 exec, exec, vcc
	s_cbranch_execz .LBB26_139
.LBB26_138:                             ; =>This Inner Loop Header: Depth=1
	s_sleep 1
	global_store_dwordx2 v[0:1], v[12:13], off
	buffer_wbl2 sc0 sc1
	s_waitcnt vmcnt(0)
	global_atomic_cmpswap_x2 v[14:15], v5, v[10:13], s[2:3] offset:24 sc0 sc1
	s_waitcnt vmcnt(0)
	v_cmp_eq_u64_e32 vcc, v[14:15], v[12:13]
	s_or_b64 s[0:1], vcc, s[0:1]
	v_mov_b64_e32 v[12:13], v[14:15]
	s_andn2_b64 exec, exec, s[0:1]
	s_cbranch_execnz .LBB26_138
.LBB26_139:
	s_or_b64 exec, exec, s[6:7]
.LBB26_140:
	s_mov_b64 s[0:1], 0
	v_mov_b64_e32 v[0:1], v[2:3]
.LBB26_141:                             ; =>This Inner Loop Header: Depth=1
	flat_load_ubyte v5, v[0:1]
	v_lshl_add_u64 v[0:1], v[0:1], 0, 1
	s_waitcnt vmcnt(0) lgkmcnt(0)
	v_cmp_eq_u16_e32 vcc, 0, v5
	s_or_b64 s[0:1], vcc, s[0:1]
	s_andn2_b64 exec, exec, s[0:1]
	s_cbranch_execnz .LBB26_141
; %bb.142:
	s_or_b64 exec, exec, s[0:1]
	s_mov_b64 s[4:5], 0
	v_cmp_ne_u64_e32 vcc, 0, v[2:3]
	s_and_saveexec_b64 s[0:1], vcc
	s_xor_b64 s[6:7], exec, s[0:1]
	s_cbranch_execz .LBB26_228
; %bb.143:
	v_sub_u32_e32 v0, v0, v2
	v_ashrrev_i32_e32 v1, 31, v0
	v_and_b32_e32 v38, 2, v8
	v_mov_b32_e32 v35, 0
	v_and_b32_e32 v8, -3, v8
	s_mov_b32 s18, 0
	s_movk_i32 s19, 0xff1f
	v_mov_b32_e32 v12, 2
	v_mov_b32_e32 v13, 1
	s_branch .LBB26_145
.LBB26_144:                             ;   in Loop: Header=BB26_145 Depth=1
	s_or_b64 exec, exec, s[12:13]
	v_sub_co_u32_e32 v0, vcc, v0, v48
	v_lshl_add_u64 v[2:3], v[2:3], 0, v[48:49]
	s_nop 0
	v_subb_co_u32_e32 v1, vcc, v1, v49, vcc
	v_cmp_eq_u64_e32 vcc, 0, v[0:1]
	s_or_b64 s[4:5], vcc, s[4:5]
	s_andn2_b64 exec, exec, s[4:5]
	s_cbranch_execz .LBB26_227
.LBB26_145:                             ; =>This Loop Header: Depth=1
                                        ;     Child Loop BB26_148 Depth 2
                                        ;     Child Loop BB26_156 Depth 2
	;; [unrolled: 1-line block ×11, first 2 shown]
	v_cmp_gt_u64_e32 vcc, 56, v[0:1]
                                        ; implicit-def: $vgpr16_vgpr17
                                        ; implicit-def: $sgpr10
	s_nop 1
	v_cndmask_b32_e32 v49, 0, v1, vcc
	v_cndmask_b32_e32 v48, 56, v0, vcc
	v_cmp_gt_u64_e32 vcc, 8, v[0:1]
	s_and_saveexec_b64 s[0:1], vcc
	s_xor_b64 s[0:1], exec, s[0:1]
	s_cbranch_execz .LBB26_151
; %bb.146:                              ;   in Loop: Header=BB26_145 Depth=1
	s_mov_b64 s[12:13], 0
	v_cmp_ne_u64_e32 vcc, 0, v[0:1]
	v_mov_b64_e32 v[16:17], 0
	s_and_saveexec_b64 s[10:11], vcc
	s_cbranch_execz .LBB26_150
; %bb.147:                              ;   in Loop: Header=BB26_145 Depth=1
	s_waitcnt vmcnt(0)
	v_lshlrev_b64 v[10:11], 3, v[48:49]
	v_mov_b64_e32 v[16:17], 0
	v_mov_b64_e32 v[14:15], v[2:3]
	s_mov_b64 s[14:15], 0
.LBB26_148:                             ;   Parent Loop BB26_145 Depth=1
                                        ; =>  This Inner Loop Header: Depth=2
	flat_load_ubyte v5, v[14:15]
	v_mov_b32_e32 v19, s18
	v_lshl_add_u64 v[14:15], v[14:15], 0, 1
	s_waitcnt vmcnt(0) lgkmcnt(0)
	v_and_b32_e32 v18, 0xffff, v5
	v_lshlrev_b64 v[18:19], s14, v[18:19]
	s_add_u32 s14, s14, 8
	s_addc_u32 s15, s15, 0
	v_cmp_eq_u32_e32 vcc, s14, v10
	v_or_b32_e32 v17, v19, v17
	s_or_b64 s[12:13], vcc, s[12:13]
	v_or_b32_e32 v16, v18, v16
	s_andn2_b64 exec, exec, s[12:13]
	s_cbranch_execnz .LBB26_148
; %bb.149:                              ;   in Loop: Header=BB26_145 Depth=1
	s_or_b64 exec, exec, s[12:13]
.LBB26_150:                             ;   in Loop: Header=BB26_145 Depth=1
	s_or_b64 exec, exec, s[10:11]
	s_mov_b32 s10, 0
.LBB26_151:                             ;   in Loop: Header=BB26_145 Depth=1
	s_or_saveexec_b64 s[0:1], s[0:1]
	v_mov_b32_e32 v5, s10
	s_waitcnt vmcnt(0)
	v_mov_b64_e32 v[10:11], v[2:3]
	s_xor_b64 exec, exec, s[0:1]
	s_cbranch_execz .LBB26_153
; %bb.152:                              ;   in Loop: Header=BB26_145 Depth=1
	flat_load_dwordx2 v[10:11], v[2:3]
	v_add_u32_e32 v5, -8, v48
	s_waitcnt vmcnt(0) lgkmcnt(0)
	v_and_b32_e32 v14, 0xff, v11
	v_and_b32_e32 v15, 0xff00, v11
	;; [unrolled: 1-line block ×4, first 2 shown]
	v_or3_b32 v16, v10, 0, 0
	v_or_b32_e32 v10, v14, v15
	v_or3_b32 v17, v10, v17, v11
	v_lshl_add_u64 v[10:11], v[2:3], 0, 8
.LBB26_153:                             ;   in Loop: Header=BB26_145 Depth=1
	s_or_b64 exec, exec, s[0:1]
	v_cmp_gt_u32_e32 vcc, 8, v5
                                        ; implicit-def: $vgpr18_vgpr19
                                        ; implicit-def: $sgpr10
	s_and_saveexec_b64 s[0:1], vcc
	s_xor_b64 s[0:1], exec, s[0:1]
	s_cbranch_execz .LBB26_159
; %bb.154:                              ;   in Loop: Header=BB26_145 Depth=1
	v_cmp_ne_u32_e32 vcc, 0, v5
	v_mov_b64_e32 v[18:19], 0
	s_and_saveexec_b64 s[10:11], vcc
	s_cbranch_execz .LBB26_158
; %bb.155:                              ;   in Loop: Header=BB26_145 Depth=1
	s_mov_b64 s[12:13], 0
	v_mov_b64_e32 v[18:19], 0
	s_mov_b64 s[14:15], 0
	s_mov_b64 s[16:17], 0
.LBB26_156:                             ;   Parent Loop BB26_145 Depth=1
                                        ; =>  This Inner Loop Header: Depth=2
	v_lshl_add_u64 v[14:15], v[10:11], 0, s[16:17]
	flat_load_ubyte v14, v[14:15]
	s_add_u32 s16, s16, 1
	v_mov_b32_e32 v15, s18
	s_addc_u32 s17, s17, 0
	v_cmp_eq_u32_e32 vcc, s16, v5
	s_waitcnt vmcnt(0) lgkmcnt(0)
	v_and_b32_e32 v14, 0xffff, v14
	v_lshlrev_b64 v[14:15], s14, v[14:15]
	s_add_u32 s14, s14, 8
	s_addc_u32 s15, s15, 0
	v_or_b32_e32 v19, v15, v19
	s_or_b64 s[12:13], vcc, s[12:13]
	v_or_b32_e32 v18, v14, v18
	s_andn2_b64 exec, exec, s[12:13]
	s_cbranch_execnz .LBB26_156
; %bb.157:                              ;   in Loop: Header=BB26_145 Depth=1
	s_or_b64 exec, exec, s[12:13]
.LBB26_158:                             ;   in Loop: Header=BB26_145 Depth=1
	s_or_b64 exec, exec, s[10:11]
	s_mov_b32 s10, 0
                                        ; implicit-def: $vgpr5
.LBB26_159:                             ;   in Loop: Header=BB26_145 Depth=1
	s_or_saveexec_b64 s[0:1], s[0:1]
	v_mov_b32_e32 v14, s10
	s_xor_b64 exec, exec, s[0:1]
	s_cbranch_execz .LBB26_161
; %bb.160:                              ;   in Loop: Header=BB26_145 Depth=1
	flat_load_dwordx2 v[18:19], v[10:11]
	v_add_u32_e32 v14, -8, v5
	v_lshl_add_u64 v[10:11], v[10:11], 0, 8
	s_waitcnt vmcnt(0) lgkmcnt(0)
	v_and_b32_e32 v5, 0xff, v19
	v_and_b32_e32 v15, 0xff00, v19
	;; [unrolled: 1-line block ×4, first 2 shown]
	v_or_b32_e32 v5, v5, v15
	v_or3_b32 v18, v18, 0, 0
	v_or3_b32 v19, v5, v20, v19
.LBB26_161:                             ;   in Loop: Header=BB26_145 Depth=1
	s_or_b64 exec, exec, s[0:1]
	v_cmp_gt_u32_e32 vcc, 8, v14
                                        ; implicit-def: $sgpr10
	s_and_saveexec_b64 s[0:1], vcc
	s_xor_b64 s[0:1], exec, s[0:1]
	s_cbranch_execz .LBB26_167
; %bb.162:                              ;   in Loop: Header=BB26_145 Depth=1
	v_cmp_ne_u32_e32 vcc, 0, v14
	v_mov_b64_e32 v[20:21], 0
	s_and_saveexec_b64 s[10:11], vcc
	s_cbranch_execz .LBB26_166
; %bb.163:                              ;   in Loop: Header=BB26_145 Depth=1
	s_mov_b64 s[12:13], 0
	v_mov_b64_e32 v[20:21], 0
	s_mov_b64 s[14:15], 0
	s_mov_b64 s[16:17], 0
.LBB26_164:                             ;   Parent Loop BB26_145 Depth=1
                                        ; =>  This Inner Loop Header: Depth=2
	v_lshl_add_u64 v[22:23], v[10:11], 0, s[16:17]
	flat_load_ubyte v5, v[22:23]
	s_add_u32 s16, s16, 1
	v_mov_b32_e32 v23, s18
	s_addc_u32 s17, s17, 0
	v_cmp_eq_u32_e32 vcc, s16, v14
	s_waitcnt vmcnt(0) lgkmcnt(0)
	v_and_b32_e32 v22, 0xffff, v5
	v_lshlrev_b64 v[22:23], s14, v[22:23]
	s_add_u32 s14, s14, 8
	s_addc_u32 s15, s15, 0
	v_or_b32_e32 v21, v23, v21
	s_or_b64 s[12:13], vcc, s[12:13]
	v_or_b32_e32 v20, v22, v20
	s_andn2_b64 exec, exec, s[12:13]
	s_cbranch_execnz .LBB26_164
; %bb.165:                              ;   in Loop: Header=BB26_145 Depth=1
	s_or_b64 exec, exec, s[12:13]
.LBB26_166:                             ;   in Loop: Header=BB26_145 Depth=1
	s_or_b64 exec, exec, s[10:11]
	s_mov_b32 s10, 0
                                        ; implicit-def: $vgpr14
.LBB26_167:                             ;   in Loop: Header=BB26_145 Depth=1
	s_or_saveexec_b64 s[0:1], s[0:1]
	v_mov_b32_e32 v5, s10
	s_xor_b64 exec, exec, s[0:1]
	s_cbranch_execz .LBB26_169
; %bb.168:                              ;   in Loop: Header=BB26_145 Depth=1
	flat_load_dwordx2 v[20:21], v[10:11]
	v_add_u32_e32 v5, -8, v14
	v_lshl_add_u64 v[10:11], v[10:11], 0, 8
	s_waitcnt vmcnt(0) lgkmcnt(0)
	v_and_b32_e32 v14, 0xff, v21
	v_and_b32_e32 v15, 0xff00, v21
	;; [unrolled: 1-line block ×4, first 2 shown]
	v_or_b32_e32 v14, v14, v15
	v_or3_b32 v20, v20, 0, 0
	v_or3_b32 v21, v14, v22, v21
.LBB26_169:                             ;   in Loop: Header=BB26_145 Depth=1
	s_or_b64 exec, exec, s[0:1]
	v_cmp_gt_u32_e32 vcc, 8, v5
                                        ; implicit-def: $vgpr22_vgpr23
                                        ; implicit-def: $sgpr10
	s_and_saveexec_b64 s[0:1], vcc
	s_xor_b64 s[0:1], exec, s[0:1]
	s_cbranch_execz .LBB26_175
; %bb.170:                              ;   in Loop: Header=BB26_145 Depth=1
	v_cmp_ne_u32_e32 vcc, 0, v5
	v_mov_b64_e32 v[22:23], 0
	s_and_saveexec_b64 s[10:11], vcc
	s_cbranch_execz .LBB26_174
; %bb.171:                              ;   in Loop: Header=BB26_145 Depth=1
	s_mov_b64 s[12:13], 0
	v_mov_b64_e32 v[22:23], 0
	s_mov_b64 s[14:15], 0
	s_mov_b64 s[16:17], 0
.LBB26_172:                             ;   Parent Loop BB26_145 Depth=1
                                        ; =>  This Inner Loop Header: Depth=2
	v_lshl_add_u64 v[14:15], v[10:11], 0, s[16:17]
	flat_load_ubyte v14, v[14:15]
	s_add_u32 s16, s16, 1
	v_mov_b32_e32 v15, s18
	s_addc_u32 s17, s17, 0
	v_cmp_eq_u32_e32 vcc, s16, v5
	s_waitcnt vmcnt(0) lgkmcnt(0)
	v_and_b32_e32 v14, 0xffff, v14
	v_lshlrev_b64 v[14:15], s14, v[14:15]
	s_add_u32 s14, s14, 8
	s_addc_u32 s15, s15, 0
	v_or_b32_e32 v23, v15, v23
	s_or_b64 s[12:13], vcc, s[12:13]
	v_or_b32_e32 v22, v14, v22
	s_andn2_b64 exec, exec, s[12:13]
	s_cbranch_execnz .LBB26_172
; %bb.173:                              ;   in Loop: Header=BB26_145 Depth=1
	s_or_b64 exec, exec, s[12:13]
.LBB26_174:                             ;   in Loop: Header=BB26_145 Depth=1
	s_or_b64 exec, exec, s[10:11]
	s_mov_b32 s10, 0
                                        ; implicit-def: $vgpr5
.LBB26_175:                             ;   in Loop: Header=BB26_145 Depth=1
	s_or_saveexec_b64 s[0:1], s[0:1]
	v_mov_b32_e32 v14, s10
	s_xor_b64 exec, exec, s[0:1]
	s_cbranch_execz .LBB26_177
; %bb.176:                              ;   in Loop: Header=BB26_145 Depth=1
	flat_load_dwordx2 v[22:23], v[10:11]
	v_add_u32_e32 v14, -8, v5
	v_lshl_add_u64 v[10:11], v[10:11], 0, 8
	s_waitcnt vmcnt(0) lgkmcnt(0)
	v_and_b32_e32 v5, 0xff, v23
	v_and_b32_e32 v15, 0xff00, v23
	;; [unrolled: 1-line block ×4, first 2 shown]
	v_or_b32_e32 v5, v5, v15
	v_or3_b32 v22, v22, 0, 0
	v_or3_b32 v23, v5, v24, v23
.LBB26_177:                             ;   in Loop: Header=BB26_145 Depth=1
	s_or_b64 exec, exec, s[0:1]
	v_cmp_gt_u32_e32 vcc, 8, v14
                                        ; implicit-def: $sgpr10
	s_and_saveexec_b64 s[0:1], vcc
	s_xor_b64 s[0:1], exec, s[0:1]
	s_cbranch_execz .LBB26_183
; %bb.178:                              ;   in Loop: Header=BB26_145 Depth=1
	v_cmp_ne_u32_e32 vcc, 0, v14
	v_mov_b64_e32 v[24:25], 0
	s_and_saveexec_b64 s[10:11], vcc
	s_cbranch_execz .LBB26_182
; %bb.179:                              ;   in Loop: Header=BB26_145 Depth=1
	s_mov_b64 s[12:13], 0
	v_mov_b64_e32 v[24:25], 0
	s_mov_b64 s[14:15], 0
	s_mov_b64 s[16:17], 0
.LBB26_180:                             ;   Parent Loop BB26_145 Depth=1
                                        ; =>  This Inner Loop Header: Depth=2
	v_lshl_add_u64 v[26:27], v[10:11], 0, s[16:17]
	flat_load_ubyte v5, v[26:27]
	s_add_u32 s16, s16, 1
	v_mov_b32_e32 v27, s18
	s_addc_u32 s17, s17, 0
	v_cmp_eq_u32_e32 vcc, s16, v14
	s_waitcnt vmcnt(0) lgkmcnt(0)
	v_and_b32_e32 v26, 0xffff, v5
	v_lshlrev_b64 v[26:27], s14, v[26:27]
	s_add_u32 s14, s14, 8
	s_addc_u32 s15, s15, 0
	v_or_b32_e32 v25, v27, v25
	s_or_b64 s[12:13], vcc, s[12:13]
	v_or_b32_e32 v24, v26, v24
	s_andn2_b64 exec, exec, s[12:13]
	s_cbranch_execnz .LBB26_180
; %bb.181:                              ;   in Loop: Header=BB26_145 Depth=1
	s_or_b64 exec, exec, s[12:13]
.LBB26_182:                             ;   in Loop: Header=BB26_145 Depth=1
	s_or_b64 exec, exec, s[10:11]
	s_mov_b32 s10, 0
                                        ; implicit-def: $vgpr14
.LBB26_183:                             ;   in Loop: Header=BB26_145 Depth=1
	s_or_saveexec_b64 s[0:1], s[0:1]
	v_mov_b32_e32 v5, s10
	s_xor_b64 exec, exec, s[0:1]
	s_cbranch_execz .LBB26_185
; %bb.184:                              ;   in Loop: Header=BB26_145 Depth=1
	flat_load_dwordx2 v[24:25], v[10:11]
	v_add_u32_e32 v5, -8, v14
	v_lshl_add_u64 v[10:11], v[10:11], 0, 8
	s_waitcnt vmcnt(0) lgkmcnt(0)
	v_and_b32_e32 v14, 0xff, v25
	v_and_b32_e32 v15, 0xff00, v25
	;; [unrolled: 1-line block ×4, first 2 shown]
	v_or_b32_e32 v14, v14, v15
	v_or3_b32 v24, v24, 0, 0
	v_or3_b32 v25, v14, v26, v25
.LBB26_185:                             ;   in Loop: Header=BB26_145 Depth=1
	s_or_b64 exec, exec, s[0:1]
	v_cmp_gt_u32_e32 vcc, 8, v5
                                        ; implicit-def: $vgpr26_vgpr27
                                        ; implicit-def: $sgpr10
	s_and_saveexec_b64 s[0:1], vcc
	s_xor_b64 s[0:1], exec, s[0:1]
	s_cbranch_execz .LBB26_191
; %bb.186:                              ;   in Loop: Header=BB26_145 Depth=1
	v_cmp_ne_u32_e32 vcc, 0, v5
	v_mov_b64_e32 v[26:27], 0
	s_and_saveexec_b64 s[10:11], vcc
	s_cbranch_execz .LBB26_190
; %bb.187:                              ;   in Loop: Header=BB26_145 Depth=1
	s_mov_b64 s[12:13], 0
	v_mov_b64_e32 v[26:27], 0
	s_mov_b64 s[14:15], 0
	s_mov_b64 s[16:17], 0
.LBB26_188:                             ;   Parent Loop BB26_145 Depth=1
                                        ; =>  This Inner Loop Header: Depth=2
	v_lshl_add_u64 v[14:15], v[10:11], 0, s[16:17]
	flat_load_ubyte v14, v[14:15]
	s_add_u32 s16, s16, 1
	v_mov_b32_e32 v15, s18
	s_addc_u32 s17, s17, 0
	v_cmp_eq_u32_e32 vcc, s16, v5
	s_waitcnt vmcnt(0) lgkmcnt(0)
	v_and_b32_e32 v14, 0xffff, v14
	v_lshlrev_b64 v[14:15], s14, v[14:15]
	s_add_u32 s14, s14, 8
	s_addc_u32 s15, s15, 0
	v_or_b32_e32 v27, v15, v27
	s_or_b64 s[12:13], vcc, s[12:13]
	v_or_b32_e32 v26, v14, v26
	s_andn2_b64 exec, exec, s[12:13]
	s_cbranch_execnz .LBB26_188
; %bb.189:                              ;   in Loop: Header=BB26_145 Depth=1
	s_or_b64 exec, exec, s[12:13]
.LBB26_190:                             ;   in Loop: Header=BB26_145 Depth=1
	s_or_b64 exec, exec, s[10:11]
	s_mov_b32 s10, 0
                                        ; implicit-def: $vgpr5
.LBB26_191:                             ;   in Loop: Header=BB26_145 Depth=1
	s_or_saveexec_b64 s[0:1], s[0:1]
	v_mov_b32_e32 v14, s10
	s_xor_b64 exec, exec, s[0:1]
	s_cbranch_execz .LBB26_193
; %bb.192:                              ;   in Loop: Header=BB26_145 Depth=1
	flat_load_dwordx2 v[26:27], v[10:11]
	v_add_u32_e32 v14, -8, v5
	v_lshl_add_u64 v[10:11], v[10:11], 0, 8
	s_waitcnt vmcnt(0) lgkmcnt(0)
	v_and_b32_e32 v5, 0xff, v27
	v_and_b32_e32 v15, 0xff00, v27
	;; [unrolled: 1-line block ×4, first 2 shown]
	v_or_b32_e32 v5, v5, v15
	v_or3_b32 v26, v26, 0, 0
	v_or3_b32 v27, v5, v28, v27
.LBB26_193:                             ;   in Loop: Header=BB26_145 Depth=1
	s_or_b64 exec, exec, s[0:1]
	v_cmp_gt_u32_e32 vcc, 8, v14
	s_and_saveexec_b64 s[0:1], vcc
	s_xor_b64 s[0:1], exec, s[0:1]
	s_cbranch_execz .LBB26_199
; %bb.194:                              ;   in Loop: Header=BB26_145 Depth=1
	v_cmp_ne_u32_e32 vcc, 0, v14
	v_mov_b64_e32 v[28:29], 0
	s_and_saveexec_b64 s[10:11], vcc
	s_cbranch_execz .LBB26_198
; %bb.195:                              ;   in Loop: Header=BB26_145 Depth=1
	s_mov_b64 s[12:13], 0
	v_mov_b64_e32 v[28:29], 0
	s_mov_b64 s[14:15], 0
.LBB26_196:                             ;   Parent Loop BB26_145 Depth=1
                                        ; =>  This Inner Loop Header: Depth=2
	flat_load_ubyte v5, v[10:11]
	v_mov_b32_e32 v31, s18
	v_add_u32_e32 v14, -1, v14
	v_cmp_eq_u32_e32 vcc, 0, v14
	v_lshl_add_u64 v[10:11], v[10:11], 0, 1
	s_waitcnt vmcnt(0) lgkmcnt(0)
	v_and_b32_e32 v30, 0xffff, v5
	v_lshlrev_b64 v[30:31], s14, v[30:31]
	s_add_u32 s14, s14, 8
	s_addc_u32 s15, s15, 0
	v_or_b32_e32 v29, v31, v29
	s_or_b64 s[12:13], vcc, s[12:13]
	v_or_b32_e32 v28, v30, v28
	s_andn2_b64 exec, exec, s[12:13]
	s_cbranch_execnz .LBB26_196
; %bb.197:                              ;   in Loop: Header=BB26_145 Depth=1
	s_or_b64 exec, exec, s[12:13]
.LBB26_198:                             ;   in Loop: Header=BB26_145 Depth=1
	s_or_b64 exec, exec, s[10:11]
                                        ; implicit-def: $vgpr10_vgpr11
.LBB26_199:                             ;   in Loop: Header=BB26_145 Depth=1
	s_andn2_saveexec_b64 s[0:1], s[0:1]
	s_cbranch_execz .LBB26_201
; %bb.200:                              ;   in Loop: Header=BB26_145 Depth=1
	flat_load_dwordx2 v[10:11], v[10:11]
	s_waitcnt vmcnt(0) lgkmcnt(0)
	v_and_b32_e32 v5, 0xff, v11
	v_and_b32_e32 v14, 0xff00, v11
	;; [unrolled: 1-line block ×4, first 2 shown]
	v_or_b32_e32 v5, v5, v14
	v_or3_b32 v29, v5, v15, v11
	v_or3_b32 v28, v10, 0, 0
.LBB26_201:                             ;   in Loop: Header=BB26_145 Depth=1
	s_or_b64 exec, exec, s[0:1]
	v_readfirstlane_b32 s0, v52
	v_mov_b64_e32 v[10:11], 0
	s_nop 0
	v_cmp_eq_u32_e64 s[0:1], s0, v52
	s_and_saveexec_b64 s[10:11], s[0:1]
	s_cbranch_execz .LBB26_207
; %bb.202:                              ;   in Loop: Header=BB26_145 Depth=1
	global_load_dwordx2 v[32:33], v35, s[2:3] offset:24 sc0 sc1
	s_waitcnt vmcnt(0)
	buffer_inv sc0 sc1
	global_load_dwordx2 v[10:11], v35, s[2:3] offset:40
	global_load_dwordx2 v[14:15], v35, s[2:3]
	s_waitcnt vmcnt(1)
	v_and_b32_e32 v5, v10, v32
	v_and_b32_e32 v10, v11, v33
	v_mul_lo_u32 v10, v10, 24
	v_mul_hi_u32 v11, v5, 24
	v_add_u32_e32 v11, v11, v10
	v_mul_lo_u32 v10, v5, 24
	s_waitcnt vmcnt(0)
	v_lshl_add_u64 v[10:11], v[14:15], 0, v[10:11]
	global_load_dwordx2 v[30:31], v[10:11], off sc0 sc1
	s_waitcnt vmcnt(0)
	global_atomic_cmpswap_x2 v[10:11], v35, v[30:33], s[2:3] offset:24 sc0 sc1
	s_waitcnt vmcnt(0)
	buffer_inv sc0 sc1
	v_cmp_ne_u64_e32 vcc, v[10:11], v[32:33]
	s_and_saveexec_b64 s[12:13], vcc
	s_cbranch_execz .LBB26_206
; %bb.203:                              ;   in Loop: Header=BB26_145 Depth=1
	s_mov_b64 s[14:15], 0
.LBB26_204:                             ;   Parent Loop BB26_145 Depth=1
                                        ; =>  This Inner Loop Header: Depth=2
	s_sleep 1
	global_load_dwordx2 v[14:15], v35, s[2:3] offset:40
	global_load_dwordx2 v[30:31], v35, s[2:3]
	v_mov_b64_e32 v[32:33], v[10:11]
	s_waitcnt vmcnt(1)
	v_and_b32_e32 v10, v14, v32
	s_waitcnt vmcnt(0)
	v_mad_u64_u32 v[10:11], s[16:17], v10, 24, v[30:31]
	v_and_b32_e32 v5, v15, v33
	v_mov_b32_e32 v14, v11
	v_mad_u64_u32 v[14:15], s[16:17], v5, 24, v[14:15]
	v_mov_b32_e32 v11, v14
	global_load_dwordx2 v[30:31], v[10:11], off sc0 sc1
	s_waitcnt vmcnt(0)
	global_atomic_cmpswap_x2 v[10:11], v35, v[30:33], s[2:3] offset:24 sc0 sc1
	s_waitcnt vmcnt(0)
	buffer_inv sc0 sc1
	v_cmp_eq_u64_e32 vcc, v[10:11], v[32:33]
	s_or_b64 s[14:15], vcc, s[14:15]
	s_andn2_b64 exec, exec, s[14:15]
	s_cbranch_execnz .LBB26_204
; %bb.205:                              ;   in Loop: Header=BB26_145 Depth=1
	s_or_b64 exec, exec, s[14:15]
.LBB26_206:                             ;   in Loop: Header=BB26_145 Depth=1
	s_or_b64 exec, exec, s[12:13]
.LBB26_207:                             ;   in Loop: Header=BB26_145 Depth=1
	s_or_b64 exec, exec, s[10:11]
	global_load_dwordx2 v[14:15], v35, s[2:3] offset:40
	global_load_dwordx4 v[30:33], v35, s[2:3]
	v_readfirstlane_b32 s10, v10
	v_readfirstlane_b32 s11, v11
	s_mov_b64 s[12:13], exec
	s_waitcnt vmcnt(1)
	v_readfirstlane_b32 s14, v14
	v_readfirstlane_b32 s15, v15
	s_and_b64 s[14:15], s[10:11], s[14:15]
	s_mul_i32 s16, s15, 24
	s_mul_hi_u32 s17, s14, 24
	s_add_i32 s17, s17, s16
	s_mul_i32 s16, s14, 24
	s_waitcnt vmcnt(0)
	v_lshl_add_u64 v[50:51], v[30:31], 0, s[16:17]
	s_and_saveexec_b64 s[16:17], s[0:1]
	s_cbranch_execz .LBB26_209
; %bb.208:                              ;   in Loop: Header=BB26_145 Depth=1
	v_mov_b64_e32 v[10:11], s[12:13]
	global_store_dwordx4 v[50:51], v[10:13], off offset:8
.LBB26_209:                             ;   in Loop: Header=BB26_145 Depth=1
	s_or_b64 exec, exec, s[16:17]
	v_or_b32_e32 v5, 0, v9
	v_or_b32_e32 v10, v8, v38
	v_cmp_lt_u64_e32 vcc, 56, v[0:1]
	s_lshl_b64 s[12:13], s[14:15], 12
	v_lshl_add_u64 v[32:33], v[32:33], 0, s[12:13]
	v_cndmask_b32_e32 v15, v5, v9, vcc
	v_cndmask_b32_e32 v5, v10, v8, vcc
	v_lshl_add_u32 v8, v48, 2, 28
	v_and_b32_e32 v8, 0x1e0, v8
	v_and_or_b32 v14, v5, s19, v8
	v_readfirstlane_b32 s12, v32
	v_readfirstlane_b32 s13, v33
	s_nop 4
	global_store_dwordx4 v34, v[14:17], s[12:13]
	global_store_dwordx4 v34, v[18:21], s[12:13] offset:16
	global_store_dwordx4 v34, v[22:25], s[12:13] offset:32
	;; [unrolled: 1-line block ×3, first 2 shown]
	s_and_saveexec_b64 s[12:13], s[0:1]
	s_cbranch_execz .LBB26_217
; %bb.210:                              ;   in Loop: Header=BB26_145 Depth=1
	global_load_dwordx2 v[18:19], v35, s[2:3] offset:32 sc0 sc1
	global_load_dwordx2 v[8:9], v35, s[2:3] offset:40
	v_mov_b32_e32 v16, s10
	v_mov_b32_e32 v17, s11
	s_waitcnt vmcnt(0)
	v_readfirstlane_b32 s14, v8
	v_readfirstlane_b32 s15, v9
	s_and_b64 s[14:15], s[14:15], s[10:11]
	s_mul_i32 s15, s15, 24
	s_mul_hi_u32 s16, s14, 24
	s_mul_i32 s14, s14, 24
	s_add_i32 s15, s16, s15
	v_lshl_add_u64 v[14:15], v[30:31], 0, s[14:15]
	global_store_dwordx2 v[14:15], v[18:19], off
	buffer_wbl2 sc0 sc1
	s_waitcnt vmcnt(0)
	global_atomic_cmpswap_x2 v[10:11], v35, v[16:19], s[2:3] offset:32 sc0 sc1
	s_waitcnt vmcnt(0)
	v_cmp_ne_u64_e32 vcc, v[10:11], v[18:19]
	s_and_saveexec_b64 s[14:15], vcc
	s_cbranch_execz .LBB26_213
; %bb.211:                              ;   in Loop: Header=BB26_145 Depth=1
	s_mov_b64 s[16:17], 0
.LBB26_212:                             ;   Parent Loop BB26_145 Depth=1
                                        ; =>  This Inner Loop Header: Depth=2
	s_sleep 1
	global_store_dwordx2 v[14:15], v[10:11], off
	v_mov_b32_e32 v8, s10
	v_mov_b32_e32 v9, s11
	buffer_wbl2 sc0 sc1
	s_waitcnt vmcnt(0)
	global_atomic_cmpswap_x2 v[8:9], v35, v[8:11], s[2:3] offset:32 sc0 sc1
	s_waitcnt vmcnt(0)
	v_cmp_eq_u64_e32 vcc, v[8:9], v[10:11]
	s_or_b64 s[16:17], vcc, s[16:17]
	v_mov_b64_e32 v[10:11], v[8:9]
	s_andn2_b64 exec, exec, s[16:17]
	s_cbranch_execnz .LBB26_212
.LBB26_213:                             ;   in Loop: Header=BB26_145 Depth=1
	s_or_b64 exec, exec, s[14:15]
	global_load_dwordx2 v[8:9], v35, s[2:3] offset:16
	s_mov_b64 s[16:17], exec
	v_mbcnt_lo_u32_b32 v5, s16, 0
	v_mbcnt_hi_u32_b32 v5, s17, v5
	v_cmp_eq_u32_e32 vcc, 0, v5
	s_and_saveexec_b64 s[14:15], vcc
	s_cbranch_execz .LBB26_215
; %bb.214:                              ;   in Loop: Header=BB26_145 Depth=1
	s_bcnt1_i32_b64 s16, s[16:17]
	v_mov_b32_e32 v10, s16
	v_mov_b32_e32 v11, v35
	buffer_wbl2 sc0 sc1
	s_waitcnt vmcnt(0)
	global_atomic_add_x2 v[8:9], v[10:11], off offset:8 sc1
.LBB26_215:                             ;   in Loop: Header=BB26_145 Depth=1
	s_or_b64 exec, exec, s[14:15]
	s_waitcnt vmcnt(0)
	global_load_dwordx2 v[10:11], v[8:9], off offset:16
	s_waitcnt vmcnt(0)
	v_cmp_eq_u64_e32 vcc, 0, v[10:11]
	s_cbranch_vccnz .LBB26_217
; %bb.216:                              ;   in Loop: Header=BB26_145 Depth=1
	global_load_dword v8, v[8:9], off offset:24
	v_mov_b32_e32 v9, v35
	s_waitcnt vmcnt(0)
	v_and_b32_e32 v5, 0xffffff, v8
	s_nop 0
	v_readfirstlane_b32 m0, v5
	buffer_wbl2 sc0 sc1
	global_store_dwordx2 v[10:11], v[8:9], off sc0 sc1
	s_sendmsg sendmsg(MSG_INTERRUPT)
.LBB26_217:                             ;   in Loop: Header=BB26_145 Depth=1
	s_or_b64 exec, exec, s[12:13]
	v_lshl_add_u64 v[8:9], v[32:33], 0, v[34:35]
	s_branch .LBB26_221
.LBB26_218:                             ;   in Loop: Header=BB26_221 Depth=2
	s_or_b64 exec, exec, s[12:13]
	v_readfirstlane_b32 s12, v5
	s_cmp_eq_u32 s12, 0
	s_cbranch_scc1 .LBB26_220
; %bb.219:                              ;   in Loop: Header=BB26_221 Depth=2
	s_sleep 1
	s_cbranch_execnz .LBB26_221
	s_branch .LBB26_223
.LBB26_220:                             ;   in Loop: Header=BB26_145 Depth=1
	s_branch .LBB26_223
.LBB26_221:                             ;   Parent Loop BB26_145 Depth=1
                                        ; =>  This Inner Loop Header: Depth=2
	v_mov_b32_e32 v5, 1
	s_and_saveexec_b64 s[12:13], s[0:1]
	s_cbranch_execz .LBB26_218
; %bb.222:                              ;   in Loop: Header=BB26_221 Depth=2
	global_load_dword v5, v[50:51], off offset:20 sc0 sc1
	s_waitcnt vmcnt(0)
	buffer_inv sc0 sc1
	v_and_b32_e32 v5, 1, v5
	s_branch .LBB26_218
.LBB26_223:                             ;   in Loop: Header=BB26_145 Depth=1
	global_load_dwordx4 v[8:11], v[8:9], off
	s_and_saveexec_b64 s[12:13], s[0:1]
	s_cbranch_execz .LBB26_144
; %bb.224:                              ;   in Loop: Header=BB26_145 Depth=1
	global_load_dwordx2 v[10:11], v35, s[2:3] offset:40
	global_load_dwordx2 v[18:19], v35, s[2:3] offset:24 sc0 sc1
	global_load_dwordx2 v[20:21], v35, s[2:3]
	s_waitcnt vmcnt(2)
	v_lshl_add_u64 v[14:15], v[10:11], 0, 1
	v_lshl_add_u64 v[22:23], v[14:15], 0, s[10:11]
	v_cmp_eq_u64_e32 vcc, 0, v[22:23]
	s_waitcnt vmcnt(1)
	v_mov_b32_e32 v16, v18
	v_mov_b32_e32 v17, v19
	v_cndmask_b32_e32 v15, v23, v15, vcc
	v_cndmask_b32_e32 v14, v22, v14, vcc
	v_and_b32_e32 v5, v15, v11
	v_and_b32_e32 v10, v14, v10
	v_mul_lo_u32 v5, v5, 24
	v_mul_hi_u32 v11, v10, 24
	v_mul_lo_u32 v10, v10, 24
	v_add_u32_e32 v11, v11, v5
	s_waitcnt vmcnt(0)
	v_lshl_add_u64 v[10:11], v[20:21], 0, v[10:11]
	global_store_dwordx2 v[10:11], v[18:19], off
	buffer_wbl2 sc0 sc1
	s_waitcnt vmcnt(0)
	global_atomic_cmpswap_x2 v[16:17], v35, v[14:17], s[2:3] offset:24 sc0 sc1
	s_waitcnt vmcnt(0)
	v_cmp_ne_u64_e32 vcc, v[16:17], v[18:19]
	s_and_b64 exec, exec, vcc
	s_cbranch_execz .LBB26_144
; %bb.225:                              ;   in Loop: Header=BB26_145 Depth=1
	s_mov_b64 s[0:1], 0
.LBB26_226:                             ;   Parent Loop BB26_145 Depth=1
                                        ; =>  This Inner Loop Header: Depth=2
	s_sleep 1
	global_store_dwordx2 v[10:11], v[16:17], off
	buffer_wbl2 sc0 sc1
	s_waitcnt vmcnt(0)
	global_atomic_cmpswap_x2 v[18:19], v35, v[14:17], s[2:3] offset:24 sc0 sc1
	s_waitcnt vmcnt(0)
	v_cmp_eq_u64_e32 vcc, v[18:19], v[16:17]
	s_or_b64 s[0:1], vcc, s[0:1]
	v_mov_b64_e32 v[16:17], v[18:19]
	s_andn2_b64 exec, exec, s[0:1]
	s_cbranch_execnz .LBB26_226
	s_branch .LBB26_144
.LBB26_227:
	s_or_b64 exec, exec, s[4:5]
.LBB26_228:
	s_andn2_saveexec_b64 s[4:5], s[6:7]
	s_cbranch_execz .LBB26_255
; %bb.229:
	v_readfirstlane_b32 s0, v52
	s_waitcnt vmcnt(0)
	v_mov_b64_e32 v[10:11], 0
	v_cmp_eq_u32_e64 s[0:1], s0, v52
	s_and_saveexec_b64 s[6:7], s[0:1]
	s_cbranch_execz .LBB26_235
; %bb.230:
	v_mov_b32_e32 v0, 0
	global_load_dwordx2 v[12:13], v0, s[2:3] offset:24 sc0 sc1
	s_waitcnt vmcnt(0)
	buffer_inv sc0 sc1
	global_load_dwordx2 v[2:3], v0, s[2:3] offset:40
	global_load_dwordx2 v[10:11], v0, s[2:3]
	s_waitcnt vmcnt(1)
	v_and_b32_e32 v1, v2, v12
	v_and_b32_e32 v2, v3, v13
	v_mul_lo_u32 v2, v2, 24
	v_mul_hi_u32 v3, v1, 24
	v_add_u32_e32 v3, v3, v2
	v_mul_lo_u32 v2, v1, 24
	s_waitcnt vmcnt(0)
	v_lshl_add_u64 v[2:3], v[10:11], 0, v[2:3]
	global_load_dwordx2 v[10:11], v[2:3], off sc0 sc1
	s_waitcnt vmcnt(0)
	global_atomic_cmpswap_x2 v[10:11], v0, v[10:13], s[2:3] offset:24 sc0 sc1
	s_waitcnt vmcnt(0)
	buffer_inv sc0 sc1
	v_cmp_ne_u64_e32 vcc, v[10:11], v[12:13]
	s_and_saveexec_b64 s[10:11], vcc
	s_cbranch_execz .LBB26_234
; %bb.231:
	s_mov_b64 s[12:13], 0
.LBB26_232:                             ; =>This Inner Loop Header: Depth=1
	s_sleep 1
	global_load_dwordx2 v[2:3], v0, s[2:3] offset:40
	global_load_dwordx2 v[14:15], v0, s[2:3]
	v_mov_b64_e32 v[12:13], v[10:11]
	s_waitcnt vmcnt(1)
	v_and_b32_e32 v2, v2, v12
	v_and_b32_e32 v1, v3, v13
	s_waitcnt vmcnt(0)
	v_mad_u64_u32 v[2:3], s[14:15], v2, 24, v[14:15]
	v_mov_b32_e32 v10, v3
	v_mad_u64_u32 v[10:11], s[14:15], v1, 24, v[10:11]
	v_mov_b32_e32 v3, v10
	global_load_dwordx2 v[10:11], v[2:3], off sc0 sc1
	s_waitcnt vmcnt(0)
	global_atomic_cmpswap_x2 v[10:11], v0, v[10:13], s[2:3] offset:24 sc0 sc1
	s_waitcnt vmcnt(0)
	buffer_inv sc0 sc1
	v_cmp_eq_u64_e32 vcc, v[10:11], v[12:13]
	s_or_b64 s[12:13], vcc, s[12:13]
	s_andn2_b64 exec, exec, s[12:13]
	s_cbranch_execnz .LBB26_232
; %bb.233:
	s_or_b64 exec, exec, s[12:13]
.LBB26_234:
	s_or_b64 exec, exec, s[10:11]
.LBB26_235:
	s_or_b64 exec, exec, s[6:7]
	v_mov_b32_e32 v35, 0
	global_load_dwordx2 v[12:13], v35, s[2:3] offset:40
	global_load_dwordx4 v[0:3], v35, s[2:3]
	v_readfirstlane_b32 s6, v10
	v_readfirstlane_b32 s7, v11
	s_mov_b64 s[10:11], exec
	s_waitcnt vmcnt(1)
	v_readfirstlane_b32 s12, v12
	v_readfirstlane_b32 s13, v13
	s_and_b64 s[12:13], s[6:7], s[12:13]
	s_mul_i32 s14, s13, 24
	s_mul_hi_u32 s15, s12, 24
	s_add_i32 s15, s15, s14
	s_mul_i32 s14, s12, 24
	s_waitcnt vmcnt(0)
	v_lshl_add_u64 v[12:13], v[0:1], 0, s[14:15]
	s_and_saveexec_b64 s[14:15], s[0:1]
	s_cbranch_execz .LBB26_237
; %bb.236:
	v_mov_b64_e32 v[14:15], s[10:11]
	v_mov_b32_e32 v16, 2
	v_mov_b32_e32 v17, 1
	global_store_dwordx4 v[12:13], v[14:17], off offset:8
.LBB26_237:
	s_or_b64 exec, exec, s[14:15]
	s_lshl_b64 s[10:11], s[12:13], 12
	v_lshl_add_u64 v[14:15], v[2:3], 0, s[10:11]
	s_movk_i32 s10, 0xff1f
	s_mov_b32 s12, 0
	v_and_or_b32 v8, v8, s10, 32
	v_mov_b32_e32 v10, v35
	v_mov_b32_e32 v11, v35
	v_readfirstlane_b32 s10, v14
	v_readfirstlane_b32 s11, v15
	s_mov_b32 s13, s12
	s_mov_b32 s14, s12
	s_mov_b32 s15, s12
	s_nop 1
	global_store_dwordx4 v34, v[8:11], s[10:11]
	s_nop 1
	v_mov_b64_e32 v[8:9], s[12:13]
	v_mov_b64_e32 v[10:11], s[14:15]
	global_store_dwordx4 v34, v[8:11], s[10:11] offset:16
	global_store_dwordx4 v34, v[8:11], s[10:11] offset:32
	;; [unrolled: 1-line block ×3, first 2 shown]
	s_and_saveexec_b64 s[10:11], s[0:1]
	s_cbranch_execz .LBB26_245
; %bb.238:
	v_mov_b32_e32 v5, 0
	global_load_dwordx2 v[18:19], v5, s[2:3] offset:32 sc0 sc1
	global_load_dwordx2 v[2:3], v5, s[2:3] offset:40
	v_mov_b32_e32 v16, s6
	v_mov_b32_e32 v17, s7
	s_waitcnt vmcnt(0)
	v_readfirstlane_b32 s12, v2
	v_readfirstlane_b32 s13, v3
	s_and_b64 s[12:13], s[12:13], s[6:7]
	s_mul_i32 s13, s13, 24
	s_mul_hi_u32 s14, s12, 24
	s_mul_i32 s12, s12, 24
	s_add_i32 s13, s14, s13
	v_lshl_add_u64 v[8:9], v[0:1], 0, s[12:13]
	global_store_dwordx2 v[8:9], v[18:19], off
	buffer_wbl2 sc0 sc1
	s_waitcnt vmcnt(0)
	global_atomic_cmpswap_x2 v[2:3], v5, v[16:19], s[2:3] offset:32 sc0 sc1
	s_waitcnt vmcnt(0)
	v_cmp_ne_u64_e32 vcc, v[2:3], v[18:19]
	s_and_saveexec_b64 s[12:13], vcc
	s_cbranch_execz .LBB26_241
; %bb.239:
	s_mov_b64 s[14:15], 0
.LBB26_240:                             ; =>This Inner Loop Header: Depth=1
	s_sleep 1
	global_store_dwordx2 v[8:9], v[2:3], off
	v_mov_b32_e32 v0, s6
	v_mov_b32_e32 v1, s7
	buffer_wbl2 sc0 sc1
	s_waitcnt vmcnt(0)
	global_atomic_cmpswap_x2 v[0:1], v5, v[0:3], s[2:3] offset:32 sc0 sc1
	s_waitcnt vmcnt(0)
	v_cmp_eq_u64_e32 vcc, v[0:1], v[2:3]
	s_or_b64 s[14:15], vcc, s[14:15]
	v_mov_b64_e32 v[2:3], v[0:1]
	s_andn2_b64 exec, exec, s[14:15]
	s_cbranch_execnz .LBB26_240
.LBB26_241:
	s_or_b64 exec, exec, s[12:13]
	v_mov_b32_e32 v3, 0
	global_load_dwordx2 v[0:1], v3, s[2:3] offset:16
	s_mov_b64 s[12:13], exec
	v_mbcnt_lo_u32_b32 v2, s12, 0
	v_mbcnt_hi_u32_b32 v2, s13, v2
	v_cmp_eq_u32_e32 vcc, 0, v2
	s_and_saveexec_b64 s[14:15], vcc
	s_cbranch_execz .LBB26_243
; %bb.242:
	s_bcnt1_i32_b64 s12, s[12:13]
	v_mov_b32_e32 v2, s12
	buffer_wbl2 sc0 sc1
	s_waitcnt vmcnt(0)
	global_atomic_add_x2 v[0:1], v[2:3], off offset:8 sc1
.LBB26_243:
	s_or_b64 exec, exec, s[14:15]
	s_waitcnt vmcnt(0)
	global_load_dwordx2 v[2:3], v[0:1], off offset:16
	s_waitcnt vmcnt(0)
	v_cmp_eq_u64_e32 vcc, 0, v[2:3]
	s_cbranch_vccnz .LBB26_245
; %bb.244:
	global_load_dword v0, v[0:1], off offset:24
	v_mov_b32_e32 v1, 0
	buffer_wbl2 sc0 sc1
	s_waitcnt vmcnt(0)
	global_store_dwordx2 v[2:3], v[0:1], off sc0 sc1
	v_and_b32_e32 v0, 0xffffff, v0
	s_nop 0
	v_readfirstlane_b32 m0, v0
	s_sendmsg sendmsg(MSG_INTERRUPT)
.LBB26_245:
	s_or_b64 exec, exec, s[10:11]
	v_lshl_add_u64 v[0:1], v[14:15], 0, v[34:35]
	s_branch .LBB26_249
.LBB26_246:                             ;   in Loop: Header=BB26_249 Depth=1
	s_or_b64 exec, exec, s[10:11]
	v_readfirstlane_b32 s10, v2
	s_cmp_eq_u32 s10, 0
	s_cbranch_scc1 .LBB26_248
; %bb.247:                              ;   in Loop: Header=BB26_249 Depth=1
	s_sleep 1
	s_cbranch_execnz .LBB26_249
	s_branch .LBB26_251
.LBB26_248:
	s_branch .LBB26_251
.LBB26_249:                             ; =>This Inner Loop Header: Depth=1
	v_mov_b32_e32 v2, 1
	s_and_saveexec_b64 s[10:11], s[0:1]
	s_cbranch_execz .LBB26_246
; %bb.250:                              ;   in Loop: Header=BB26_249 Depth=1
	global_load_dword v2, v[12:13], off offset:20 sc0 sc1
	s_waitcnt vmcnt(0)
	buffer_inv sc0 sc1
	v_and_b32_e32 v2, 1, v2
	s_branch .LBB26_246
.LBB26_251:
	global_load_dwordx2 v[8:9], v[0:1], off
	s_and_saveexec_b64 s[10:11], s[0:1]
	s_cbranch_execz .LBB26_254
; %bb.252:
	v_mov_b32_e32 v5, 0
	global_load_dwordx2 v[10:11], v5, s[2:3] offset:40
	global_load_dwordx2 v[12:13], v5, s[2:3] offset:24 sc0 sc1
	global_load_dwordx2 v[14:15], v5, s[2:3]
	s_mov_b64 s[0:1], 0
	s_waitcnt vmcnt(2)
	v_lshl_add_u64 v[0:1], v[10:11], 0, 1
	v_lshl_add_u64 v[16:17], v[0:1], 0, s[6:7]
	v_cmp_eq_u64_e32 vcc, 0, v[16:17]
	s_waitcnt vmcnt(1)
	v_mov_b32_e32 v2, v12
	v_cndmask_b32_e32 v1, v17, v1, vcc
	v_cndmask_b32_e32 v0, v16, v0, vcc
	v_and_b32_e32 v3, v1, v11
	v_and_b32_e32 v10, v0, v10
	v_mul_lo_u32 v3, v3, 24
	v_mul_hi_u32 v11, v10, 24
	v_mul_lo_u32 v10, v10, 24
	v_add_u32_e32 v11, v11, v3
	s_waitcnt vmcnt(0)
	v_lshl_add_u64 v[10:11], v[14:15], 0, v[10:11]
	global_store_dwordx2 v[10:11], v[12:13], off
	v_mov_b32_e32 v3, v13
	buffer_wbl2 sc0 sc1
	s_waitcnt vmcnt(0)
	global_atomic_cmpswap_x2 v[2:3], v5, v[0:3], s[2:3] offset:24 sc0 sc1
	s_waitcnt vmcnt(0)
	v_cmp_ne_u64_e32 vcc, v[2:3], v[12:13]
	s_and_b64 exec, exec, vcc
	s_cbranch_execz .LBB26_254
.LBB26_253:                             ; =>This Inner Loop Header: Depth=1
	s_sleep 1
	global_store_dwordx2 v[10:11], v[2:3], off
	buffer_wbl2 sc0 sc1
	s_waitcnt vmcnt(0)
	global_atomic_cmpswap_x2 v[12:13], v5, v[0:3], s[2:3] offset:24 sc0 sc1
	s_waitcnt vmcnt(0)
	v_cmp_eq_u64_e32 vcc, v[12:13], v[2:3]
	s_or_b64 s[0:1], vcc, s[0:1]
	v_mov_b64_e32 v[2:3], v[12:13]
	s_andn2_b64 exec, exec, s[0:1]
	s_cbranch_execnz .LBB26_253
.LBB26_254:
	s_or_b64 exec, exec, s[10:11]
.LBB26_255:
	s_or_b64 exec, exec, s[4:5]
	v_readfirstlane_b32 s0, v52
	s_waitcnt vmcnt(0)
	v_mov_b64_e32 v[10:11], 0
	v_cmp_eq_u32_e64 s[0:1], s0, v52
	s_and_saveexec_b64 s[4:5], s[0:1]
	s_cbranch_execz .LBB26_261
; %bb.256:
	v_mov_b32_e32 v0, 0
	global_load_dwordx2 v[12:13], v0, s[2:3] offset:24 sc0 sc1
	s_waitcnt vmcnt(0)
	buffer_inv sc0 sc1
	global_load_dwordx2 v[2:3], v0, s[2:3] offset:40
	global_load_dwordx2 v[10:11], v0, s[2:3]
	s_waitcnt vmcnt(1)
	v_and_b32_e32 v1, v2, v12
	v_and_b32_e32 v2, v3, v13
	v_mul_lo_u32 v2, v2, 24
	v_mul_hi_u32 v3, v1, 24
	v_add_u32_e32 v3, v3, v2
	v_mul_lo_u32 v2, v1, 24
	s_waitcnt vmcnt(0)
	v_lshl_add_u64 v[2:3], v[10:11], 0, v[2:3]
	global_load_dwordx2 v[10:11], v[2:3], off sc0 sc1
	s_waitcnt vmcnt(0)
	global_atomic_cmpswap_x2 v[10:11], v0, v[10:13], s[2:3] offset:24 sc0 sc1
	s_waitcnt vmcnt(0)
	buffer_inv sc0 sc1
	v_cmp_ne_u64_e32 vcc, v[10:11], v[12:13]
	s_and_saveexec_b64 s[6:7], vcc
	s_cbranch_execz .LBB26_260
; %bb.257:
	s_mov_b64 s[10:11], 0
.LBB26_258:                             ; =>This Inner Loop Header: Depth=1
	s_sleep 1
	global_load_dwordx2 v[2:3], v0, s[2:3] offset:40
	global_load_dwordx2 v[14:15], v0, s[2:3]
	v_mov_b64_e32 v[12:13], v[10:11]
	s_waitcnt vmcnt(1)
	v_and_b32_e32 v2, v2, v12
	v_and_b32_e32 v1, v3, v13
	s_waitcnt vmcnt(0)
	v_mad_u64_u32 v[2:3], s[12:13], v2, 24, v[14:15]
	v_mov_b32_e32 v10, v3
	v_mad_u64_u32 v[10:11], s[12:13], v1, 24, v[10:11]
	v_mov_b32_e32 v3, v10
	global_load_dwordx2 v[10:11], v[2:3], off sc0 sc1
	s_waitcnt vmcnt(0)
	global_atomic_cmpswap_x2 v[10:11], v0, v[10:13], s[2:3] offset:24 sc0 sc1
	s_waitcnt vmcnt(0)
	buffer_inv sc0 sc1
	v_cmp_eq_u64_e32 vcc, v[10:11], v[12:13]
	s_or_b64 s[10:11], vcc, s[10:11]
	s_andn2_b64 exec, exec, s[10:11]
	s_cbranch_execnz .LBB26_258
; %bb.259:
	s_or_b64 exec, exec, s[10:11]
.LBB26_260:
	s_or_b64 exec, exec, s[6:7]
.LBB26_261:
	s_or_b64 exec, exec, s[4:5]
	v_mov_b32_e32 v35, 0
	global_load_dwordx2 v[12:13], v35, s[2:3] offset:40
	global_load_dwordx4 v[0:3], v35, s[2:3]
	v_readfirstlane_b32 s4, v10
	v_readfirstlane_b32 s5, v11
	s_mov_b64 s[6:7], exec
	s_waitcnt vmcnt(1)
	v_readfirstlane_b32 s10, v12
	v_readfirstlane_b32 s11, v13
	s_and_b64 s[10:11], s[4:5], s[10:11]
	s_mul_i32 s12, s11, 24
	s_mul_hi_u32 s13, s10, 24
	s_add_i32 s13, s13, s12
	s_mul_i32 s12, s10, 24
	s_waitcnt vmcnt(0)
	v_lshl_add_u64 v[12:13], v[0:1], 0, s[12:13]
	s_and_saveexec_b64 s[12:13], s[0:1]
	s_cbranch_execz .LBB26_263
; %bb.262:
	v_mov_b64_e32 v[14:15], s[6:7]
	v_mov_b32_e32 v16, 2
	v_mov_b32_e32 v17, 1
	global_store_dwordx4 v[12:13], v[14:17], off offset:8
.LBB26_263:
	s_or_b64 exec, exec, s[12:13]
	s_mov_b32 s12, 0
	s_lshl_b64 s[6:7], s[10:11], 12
	s_mov_b32 s13, s12
	v_lshl_add_u64 v[14:15], v[2:3], 0, s[6:7]
	s_movk_i32 s6, 0xff1f
	v_mov_b32_e32 v10, v4
	s_mov_b32 s14, s12
	s_mov_b32 s15, s12
	v_mov_b64_e32 v[2:3], s[12:13]
	v_and_or_b32 v8, v8, s6, 32
	v_mov_b32_e32 v11, v35
	v_readfirstlane_b32 s6, v14
	v_readfirstlane_b32 s7, v15
	v_mov_b64_e32 v[4:5], s[14:15]
	s_nop 3
	global_store_dwordx4 v34, v[8:11], s[6:7]
	global_store_dwordx4 v34, v[2:5], s[6:7] offset:16
	global_store_dwordx4 v34, v[2:5], s[6:7] offset:32
	;; [unrolled: 1-line block ×3, first 2 shown]
	s_and_saveexec_b64 s[6:7], s[0:1]
	s_cbranch_execz .LBB26_271
; %bb.264:
	v_mov_b32_e32 v8, 0
	global_load_dwordx2 v[18:19], v8, s[2:3] offset:32 sc0 sc1
	global_load_dwordx2 v[2:3], v8, s[2:3] offset:40
	v_mov_b32_e32 v16, s4
	v_mov_b32_e32 v17, s5
	s_waitcnt vmcnt(0)
	v_readfirstlane_b32 s10, v2
	v_readfirstlane_b32 s11, v3
	s_and_b64 s[10:11], s[10:11], s[4:5]
	s_mul_i32 s11, s11, 24
	s_mul_hi_u32 s12, s10, 24
	s_mul_i32 s10, s10, 24
	s_add_i32 s11, s12, s11
	v_lshl_add_u64 v[4:5], v[0:1], 0, s[10:11]
	global_store_dwordx2 v[4:5], v[18:19], off
	buffer_wbl2 sc0 sc1
	s_waitcnt vmcnt(0)
	global_atomic_cmpswap_x2 v[2:3], v8, v[16:19], s[2:3] offset:32 sc0 sc1
	s_waitcnt vmcnt(0)
	v_cmp_ne_u64_e32 vcc, v[2:3], v[18:19]
	s_and_saveexec_b64 s[10:11], vcc
	s_cbranch_execz .LBB26_267
; %bb.265:
	s_mov_b64 s[12:13], 0
.LBB26_266:                             ; =>This Inner Loop Header: Depth=1
	s_sleep 1
	global_store_dwordx2 v[4:5], v[2:3], off
	v_mov_b32_e32 v0, s4
	v_mov_b32_e32 v1, s5
	buffer_wbl2 sc0 sc1
	s_waitcnt vmcnt(0)
	global_atomic_cmpswap_x2 v[0:1], v8, v[0:3], s[2:3] offset:32 sc0 sc1
	s_waitcnt vmcnt(0)
	v_cmp_eq_u64_e32 vcc, v[0:1], v[2:3]
	s_or_b64 s[12:13], vcc, s[12:13]
	v_mov_b64_e32 v[2:3], v[0:1]
	s_andn2_b64 exec, exec, s[12:13]
	s_cbranch_execnz .LBB26_266
.LBB26_267:
	s_or_b64 exec, exec, s[10:11]
	v_mov_b32_e32 v3, 0
	global_load_dwordx2 v[0:1], v3, s[2:3] offset:16
	s_mov_b64 s[10:11], exec
	v_mbcnt_lo_u32_b32 v2, s10, 0
	v_mbcnt_hi_u32_b32 v2, s11, v2
	v_cmp_eq_u32_e32 vcc, 0, v2
	s_and_saveexec_b64 s[12:13], vcc
	s_cbranch_execz .LBB26_269
; %bb.268:
	s_bcnt1_i32_b64 s10, s[10:11]
	v_mov_b32_e32 v2, s10
	buffer_wbl2 sc0 sc1
	s_waitcnt vmcnt(0)
	global_atomic_add_x2 v[0:1], v[2:3], off offset:8 sc1
.LBB26_269:
	s_or_b64 exec, exec, s[12:13]
	s_waitcnt vmcnt(0)
	global_load_dwordx2 v[2:3], v[0:1], off offset:16
	s_waitcnt vmcnt(0)
	v_cmp_eq_u64_e32 vcc, 0, v[2:3]
	s_cbranch_vccnz .LBB26_271
; %bb.270:
	global_load_dword v0, v[0:1], off offset:24
	v_mov_b32_e32 v1, 0
	buffer_wbl2 sc0 sc1
	s_waitcnt vmcnt(0)
	global_store_dwordx2 v[2:3], v[0:1], off sc0 sc1
	v_and_b32_e32 v0, 0xffffff, v0
	s_nop 0
	v_readfirstlane_b32 m0, v0
	s_sendmsg sendmsg(MSG_INTERRUPT)
.LBB26_271:
	s_or_b64 exec, exec, s[6:7]
	v_lshl_add_u64 v[0:1], v[14:15], 0, v[34:35]
	s_branch .LBB26_275
.LBB26_272:                             ;   in Loop: Header=BB26_275 Depth=1
	s_or_b64 exec, exec, s[6:7]
	v_readfirstlane_b32 s6, v2
	s_cmp_eq_u32 s6, 0
	s_cbranch_scc1 .LBB26_274
; %bb.273:                              ;   in Loop: Header=BB26_275 Depth=1
	s_sleep 1
	s_cbranch_execnz .LBB26_275
	s_branch .LBB26_277
.LBB26_274:
	s_branch .LBB26_277
.LBB26_275:                             ; =>This Inner Loop Header: Depth=1
	v_mov_b32_e32 v2, 1
	s_and_saveexec_b64 s[6:7], s[0:1]
	s_cbranch_execz .LBB26_272
; %bb.276:                              ;   in Loop: Header=BB26_275 Depth=1
	global_load_dword v2, v[12:13], off offset:20 sc0 sc1
	s_waitcnt vmcnt(0)
	buffer_inv sc0 sc1
	v_and_b32_e32 v2, 1, v2
	s_branch .LBB26_272
.LBB26_277:
	global_load_dwordx2 v[0:1], v[0:1], off
	s_and_saveexec_b64 s[6:7], s[0:1]
	s_cbranch_execz .LBB26_280
; %bb.278:
	v_mov_b32_e32 v10, 0
	global_load_dwordx2 v[8:9], v10, s[2:3] offset:40
	global_load_dwordx2 v[12:13], v10, s[2:3] offset:24 sc0 sc1
	global_load_dwordx2 v[14:15], v10, s[2:3]
	s_mov_b64 s[0:1], 0
	s_waitcnt vmcnt(2)
	v_lshl_add_u64 v[2:3], v[8:9], 0, 1
	v_lshl_add_u64 v[16:17], v[2:3], 0, s[4:5]
	v_cmp_eq_u64_e32 vcc, 0, v[16:17]
	s_waitcnt vmcnt(1)
	v_mov_b32_e32 v4, v12
	v_cndmask_b32_e32 v3, v17, v3, vcc
	v_cndmask_b32_e32 v2, v16, v2, vcc
	v_and_b32_e32 v5, v3, v9
	v_and_b32_e32 v8, v2, v8
	v_mul_lo_u32 v5, v5, 24
	v_mul_hi_u32 v9, v8, 24
	v_mul_lo_u32 v8, v8, 24
	v_add_u32_e32 v9, v9, v5
	s_waitcnt vmcnt(0)
	v_lshl_add_u64 v[8:9], v[14:15], 0, v[8:9]
	global_store_dwordx2 v[8:9], v[12:13], off
	v_mov_b32_e32 v5, v13
	buffer_wbl2 sc0 sc1
	s_waitcnt vmcnt(0)
	global_atomic_cmpswap_x2 v[4:5], v10, v[2:5], s[2:3] offset:24 sc0 sc1
	s_waitcnt vmcnt(0)
	v_cmp_ne_u64_e32 vcc, v[4:5], v[12:13]
	s_and_b64 exec, exec, vcc
	s_cbranch_execz .LBB26_280
.LBB26_279:                             ; =>This Inner Loop Header: Depth=1
	s_sleep 1
	global_store_dwordx2 v[8:9], v[4:5], off
	buffer_wbl2 sc0 sc1
	s_waitcnt vmcnt(0)
	global_atomic_cmpswap_x2 v[12:13], v10, v[2:5], s[2:3] offset:24 sc0 sc1
	s_waitcnt vmcnt(0)
	v_cmp_eq_u64_e32 vcc, v[12:13], v[4:5]
	s_or_b64 s[0:1], vcc, s[0:1]
	v_mov_b64_e32 v[4:5], v[12:13]
	s_andn2_b64 exec, exec, s[0:1]
	s_cbranch_execnz .LBB26_279
.LBB26_280:
	s_or_b64 exec, exec, s[6:7]
	s_mov_b64 s[0:1], 0
	v_mov_b64_e32 v[2:3], v[36:37]
.LBB26_281:                             ; =>This Inner Loop Header: Depth=1
	flat_load_ubyte v4, v[2:3]
	v_lshl_add_u64 v[2:3], v[2:3], 0, 1
	s_waitcnt vmcnt(0) lgkmcnt(0)
	v_cmp_eq_u16_e32 vcc, 0, v4
	s_or_b64 s[0:1], vcc, s[0:1]
	s_andn2_b64 exec, exec, s[0:1]
	s_cbranch_execnz .LBB26_281
; %bb.282:
	s_or_b64 exec, exec, s[0:1]
	s_mov_b64 s[4:5], 0
	v_cmp_ne_u64_e32 vcc, 0, v[36:37]
	s_and_saveexec_b64 s[0:1], vcc
	s_xor_b64 s[6:7], exec, s[0:1]
	s_cbranch_execz .LBB26_368
; %bb.283:
	v_sub_u32_e32 v28, v2, v36
	v_ashrrev_i32_e32 v29, 31, v28
	v_and_b32_e32 v30, 2, v0
	v_mov_b32_e32 v35, 0
	v_and_b32_e32 v0, -3, v0
	s_mov_b32 s18, 0
	s_movk_i32 s19, 0xff1f
	v_mov_b32_e32 v4, 2
	v_mov_b32_e32 v5, 1
	s_branch .LBB26_285
.LBB26_284:                             ;   in Loop: Header=BB26_285 Depth=1
	s_or_b64 exec, exec, s[12:13]
	v_sub_co_u32_e32 v28, vcc, v28, v32
	v_lshl_add_u64 v[36:37], v[36:37], 0, v[32:33]
	s_nop 0
	v_subb_co_u32_e32 v29, vcc, v29, v33, vcc
	v_cmp_eq_u64_e32 vcc, 0, v[28:29]
	s_or_b64 s[4:5], vcc, s[4:5]
	s_andn2_b64 exec, exec, s[4:5]
	s_cbranch_execz .LBB26_367
.LBB26_285:                             ; =>This Loop Header: Depth=1
                                        ;     Child Loop BB26_288 Depth 2
                                        ;     Child Loop BB26_296 Depth 2
	;; [unrolled: 1-line block ×11, first 2 shown]
	v_cmp_gt_u64_e32 vcc, 56, v[28:29]
                                        ; implicit-def: $vgpr10_vgpr11
                                        ; implicit-def: $sgpr10
	s_nop 1
	v_cndmask_b32_e32 v33, 0, v29, vcc
	v_cndmask_b32_e32 v32, 56, v28, vcc
	v_cmp_gt_u64_e32 vcc, 8, v[28:29]
	s_and_saveexec_b64 s[0:1], vcc
	s_xor_b64 s[0:1], exec, s[0:1]
	s_cbranch_execz .LBB26_291
; %bb.286:                              ;   in Loop: Header=BB26_285 Depth=1
	s_mov_b64 s[12:13], 0
	v_cmp_ne_u64_e32 vcc, 0, v[28:29]
	v_mov_b64_e32 v[10:11], 0
	s_and_saveexec_b64 s[10:11], vcc
	s_cbranch_execz .LBB26_290
; %bb.287:                              ;   in Loop: Header=BB26_285 Depth=1
	s_waitcnt vmcnt(0)
	v_lshlrev_b64 v[2:3], 3, v[32:33]
	v_mov_b64_e32 v[10:11], 0
	v_mov_b64_e32 v[8:9], v[36:37]
	s_mov_b64 s[14:15], 0
.LBB26_288:                             ;   Parent Loop BB26_285 Depth=1
                                        ; =>  This Inner Loop Header: Depth=2
	flat_load_ubyte v3, v[8:9]
	v_mov_b32_e32 v13, s18
	v_lshl_add_u64 v[8:9], v[8:9], 0, 1
	s_waitcnt vmcnt(0) lgkmcnt(0)
	v_and_b32_e32 v12, 0xffff, v3
	v_lshlrev_b64 v[12:13], s14, v[12:13]
	s_add_u32 s14, s14, 8
	s_addc_u32 s15, s15, 0
	v_cmp_eq_u32_e32 vcc, s14, v2
	v_or_b32_e32 v11, v13, v11
	s_or_b64 s[12:13], vcc, s[12:13]
	v_or_b32_e32 v10, v12, v10
	s_andn2_b64 exec, exec, s[12:13]
	s_cbranch_execnz .LBB26_288
; %bb.289:                              ;   in Loop: Header=BB26_285 Depth=1
	s_or_b64 exec, exec, s[12:13]
.LBB26_290:                             ;   in Loop: Header=BB26_285 Depth=1
	s_or_b64 exec, exec, s[10:11]
	s_mov_b32 s10, 0
.LBB26_291:                             ;   in Loop: Header=BB26_285 Depth=1
	s_or_saveexec_b64 s[0:1], s[0:1]
	v_mov_b32_e32 v8, s10
	s_waitcnt vmcnt(0)
	v_mov_b64_e32 v[2:3], v[36:37]
	s_xor_b64 exec, exec, s[0:1]
	s_cbranch_execz .LBB26_293
; %bb.292:                              ;   in Loop: Header=BB26_285 Depth=1
	flat_load_dwordx2 v[2:3], v[36:37]
	v_add_u32_e32 v8, -8, v32
	s_waitcnt vmcnt(0) lgkmcnt(0)
	v_and_b32_e32 v9, 0xff, v3
	v_and_b32_e32 v11, 0xff00, v3
	;; [unrolled: 1-line block ×4, first 2 shown]
	v_or3_b32 v10, v2, 0, 0
	v_or_b32_e32 v2, v9, v11
	v_or3_b32 v11, v2, v12, v3
	v_lshl_add_u64 v[2:3], v[36:37], 0, 8
.LBB26_293:                             ;   in Loop: Header=BB26_285 Depth=1
	s_or_b64 exec, exec, s[0:1]
	v_cmp_gt_u32_e32 vcc, 8, v8
                                        ; implicit-def: $vgpr12_vgpr13
                                        ; implicit-def: $sgpr10
	s_and_saveexec_b64 s[0:1], vcc
	s_xor_b64 s[0:1], exec, s[0:1]
	s_cbranch_execz .LBB26_299
; %bb.294:                              ;   in Loop: Header=BB26_285 Depth=1
	v_cmp_ne_u32_e32 vcc, 0, v8
	v_mov_b64_e32 v[12:13], 0
	s_and_saveexec_b64 s[10:11], vcc
	s_cbranch_execz .LBB26_298
; %bb.295:                              ;   in Loop: Header=BB26_285 Depth=1
	s_mov_b64 s[12:13], 0
	v_mov_b64_e32 v[12:13], 0
	s_mov_b64 s[14:15], 0
	s_mov_b64 s[16:17], 0
.LBB26_296:                             ;   Parent Loop BB26_285 Depth=1
                                        ; =>  This Inner Loop Header: Depth=2
	v_lshl_add_u64 v[14:15], v[2:3], 0, s[16:17]
	flat_load_ubyte v9, v[14:15]
	s_add_u32 s16, s16, 1
	v_mov_b32_e32 v15, s18
	s_addc_u32 s17, s17, 0
	v_cmp_eq_u32_e32 vcc, s16, v8
	s_waitcnt vmcnt(0) lgkmcnt(0)
	v_and_b32_e32 v14, 0xffff, v9
	v_lshlrev_b64 v[14:15], s14, v[14:15]
	s_add_u32 s14, s14, 8
	s_addc_u32 s15, s15, 0
	v_or_b32_e32 v13, v15, v13
	s_or_b64 s[12:13], vcc, s[12:13]
	v_or_b32_e32 v12, v14, v12
	s_andn2_b64 exec, exec, s[12:13]
	s_cbranch_execnz .LBB26_296
; %bb.297:                              ;   in Loop: Header=BB26_285 Depth=1
	s_or_b64 exec, exec, s[12:13]
.LBB26_298:                             ;   in Loop: Header=BB26_285 Depth=1
	s_or_b64 exec, exec, s[10:11]
	s_mov_b32 s10, 0
                                        ; implicit-def: $vgpr8
.LBB26_299:                             ;   in Loop: Header=BB26_285 Depth=1
	s_or_saveexec_b64 s[0:1], s[0:1]
	v_mov_b32_e32 v9, s10
	s_xor_b64 exec, exec, s[0:1]
	s_cbranch_execz .LBB26_301
; %bb.300:                              ;   in Loop: Header=BB26_285 Depth=1
	flat_load_dwordx2 v[12:13], v[2:3]
	v_add_u32_e32 v9, -8, v8
	v_lshl_add_u64 v[2:3], v[2:3], 0, 8
	s_waitcnt vmcnt(0) lgkmcnt(0)
	v_and_b32_e32 v8, 0xff, v13
	v_and_b32_e32 v14, 0xff00, v13
	;; [unrolled: 1-line block ×4, first 2 shown]
	v_or_b32_e32 v8, v8, v14
	v_or3_b32 v12, v12, 0, 0
	v_or3_b32 v13, v8, v15, v13
.LBB26_301:                             ;   in Loop: Header=BB26_285 Depth=1
	s_or_b64 exec, exec, s[0:1]
	v_cmp_gt_u32_e32 vcc, 8, v9
                                        ; implicit-def: $sgpr10
	s_and_saveexec_b64 s[0:1], vcc
	s_xor_b64 s[0:1], exec, s[0:1]
	s_cbranch_execz .LBB26_307
; %bb.302:                              ;   in Loop: Header=BB26_285 Depth=1
	v_cmp_ne_u32_e32 vcc, 0, v9
	v_mov_b64_e32 v[14:15], 0
	s_and_saveexec_b64 s[10:11], vcc
	s_cbranch_execz .LBB26_306
; %bb.303:                              ;   in Loop: Header=BB26_285 Depth=1
	s_mov_b64 s[12:13], 0
	v_mov_b64_e32 v[14:15], 0
	s_mov_b64 s[14:15], 0
	s_mov_b64 s[16:17], 0
.LBB26_304:                             ;   Parent Loop BB26_285 Depth=1
                                        ; =>  This Inner Loop Header: Depth=2
	v_lshl_add_u64 v[16:17], v[2:3], 0, s[16:17]
	flat_load_ubyte v8, v[16:17]
	s_add_u32 s16, s16, 1
	v_mov_b32_e32 v17, s18
	s_addc_u32 s17, s17, 0
	v_cmp_eq_u32_e32 vcc, s16, v9
	s_waitcnt vmcnt(0) lgkmcnt(0)
	v_and_b32_e32 v16, 0xffff, v8
	v_lshlrev_b64 v[16:17], s14, v[16:17]
	s_add_u32 s14, s14, 8
	s_addc_u32 s15, s15, 0
	v_or_b32_e32 v15, v17, v15
	s_or_b64 s[12:13], vcc, s[12:13]
	v_or_b32_e32 v14, v16, v14
	s_andn2_b64 exec, exec, s[12:13]
	s_cbranch_execnz .LBB26_304
; %bb.305:                              ;   in Loop: Header=BB26_285 Depth=1
	s_or_b64 exec, exec, s[12:13]
.LBB26_306:                             ;   in Loop: Header=BB26_285 Depth=1
	s_or_b64 exec, exec, s[10:11]
	s_mov_b32 s10, 0
                                        ; implicit-def: $vgpr9
.LBB26_307:                             ;   in Loop: Header=BB26_285 Depth=1
	s_or_saveexec_b64 s[0:1], s[0:1]
	v_mov_b32_e32 v8, s10
	s_xor_b64 exec, exec, s[0:1]
	s_cbranch_execz .LBB26_309
; %bb.308:                              ;   in Loop: Header=BB26_285 Depth=1
	flat_load_dwordx2 v[14:15], v[2:3]
	v_add_u32_e32 v8, -8, v9
	v_lshl_add_u64 v[2:3], v[2:3], 0, 8
	s_waitcnt vmcnt(0) lgkmcnt(0)
	v_and_b32_e32 v9, 0xff, v15
	v_and_b32_e32 v16, 0xff00, v15
	;; [unrolled: 1-line block ×4, first 2 shown]
	v_or_b32_e32 v9, v9, v16
	v_or3_b32 v14, v14, 0, 0
	v_or3_b32 v15, v9, v17, v15
.LBB26_309:                             ;   in Loop: Header=BB26_285 Depth=1
	s_or_b64 exec, exec, s[0:1]
	v_cmp_gt_u32_e32 vcc, 8, v8
                                        ; implicit-def: $vgpr16_vgpr17
                                        ; implicit-def: $sgpr10
	s_and_saveexec_b64 s[0:1], vcc
	s_xor_b64 s[0:1], exec, s[0:1]
	s_cbranch_execz .LBB26_315
; %bb.310:                              ;   in Loop: Header=BB26_285 Depth=1
	v_cmp_ne_u32_e32 vcc, 0, v8
	v_mov_b64_e32 v[16:17], 0
	s_and_saveexec_b64 s[10:11], vcc
	s_cbranch_execz .LBB26_314
; %bb.311:                              ;   in Loop: Header=BB26_285 Depth=1
	s_mov_b64 s[12:13], 0
	v_mov_b64_e32 v[16:17], 0
	s_mov_b64 s[14:15], 0
	s_mov_b64 s[16:17], 0
.LBB26_312:                             ;   Parent Loop BB26_285 Depth=1
                                        ; =>  This Inner Loop Header: Depth=2
	v_lshl_add_u64 v[18:19], v[2:3], 0, s[16:17]
	flat_load_ubyte v9, v[18:19]
	s_add_u32 s16, s16, 1
	v_mov_b32_e32 v19, s18
	s_addc_u32 s17, s17, 0
	v_cmp_eq_u32_e32 vcc, s16, v8
	s_waitcnt vmcnt(0) lgkmcnt(0)
	v_and_b32_e32 v18, 0xffff, v9
	v_lshlrev_b64 v[18:19], s14, v[18:19]
	s_add_u32 s14, s14, 8
	s_addc_u32 s15, s15, 0
	v_or_b32_e32 v17, v19, v17
	s_or_b64 s[12:13], vcc, s[12:13]
	v_or_b32_e32 v16, v18, v16
	s_andn2_b64 exec, exec, s[12:13]
	s_cbranch_execnz .LBB26_312
; %bb.313:                              ;   in Loop: Header=BB26_285 Depth=1
	s_or_b64 exec, exec, s[12:13]
.LBB26_314:                             ;   in Loop: Header=BB26_285 Depth=1
	s_or_b64 exec, exec, s[10:11]
	s_mov_b32 s10, 0
                                        ; implicit-def: $vgpr8
.LBB26_315:                             ;   in Loop: Header=BB26_285 Depth=1
	s_or_saveexec_b64 s[0:1], s[0:1]
	v_mov_b32_e32 v9, s10
	s_xor_b64 exec, exec, s[0:1]
	s_cbranch_execz .LBB26_317
; %bb.316:                              ;   in Loop: Header=BB26_285 Depth=1
	flat_load_dwordx2 v[16:17], v[2:3]
	v_add_u32_e32 v9, -8, v8
	v_lshl_add_u64 v[2:3], v[2:3], 0, 8
	s_waitcnt vmcnt(0) lgkmcnt(0)
	v_and_b32_e32 v8, 0xff, v17
	v_and_b32_e32 v18, 0xff00, v17
	;; [unrolled: 1-line block ×4, first 2 shown]
	v_or_b32_e32 v8, v8, v18
	v_or3_b32 v16, v16, 0, 0
	v_or3_b32 v17, v8, v19, v17
.LBB26_317:                             ;   in Loop: Header=BB26_285 Depth=1
	s_or_b64 exec, exec, s[0:1]
	v_cmp_gt_u32_e32 vcc, 8, v9
                                        ; implicit-def: $sgpr10
	s_and_saveexec_b64 s[0:1], vcc
	s_xor_b64 s[0:1], exec, s[0:1]
	s_cbranch_execz .LBB26_323
; %bb.318:                              ;   in Loop: Header=BB26_285 Depth=1
	v_cmp_ne_u32_e32 vcc, 0, v9
	v_mov_b64_e32 v[18:19], 0
	s_and_saveexec_b64 s[10:11], vcc
	s_cbranch_execz .LBB26_322
; %bb.319:                              ;   in Loop: Header=BB26_285 Depth=1
	s_mov_b64 s[12:13], 0
	v_mov_b64_e32 v[18:19], 0
	s_mov_b64 s[14:15], 0
	s_mov_b64 s[16:17], 0
.LBB26_320:                             ;   Parent Loop BB26_285 Depth=1
                                        ; =>  This Inner Loop Header: Depth=2
	v_lshl_add_u64 v[20:21], v[2:3], 0, s[16:17]
	flat_load_ubyte v8, v[20:21]
	s_add_u32 s16, s16, 1
	v_mov_b32_e32 v21, s18
	s_addc_u32 s17, s17, 0
	v_cmp_eq_u32_e32 vcc, s16, v9
	s_waitcnt vmcnt(0) lgkmcnt(0)
	v_and_b32_e32 v20, 0xffff, v8
	v_lshlrev_b64 v[20:21], s14, v[20:21]
	s_add_u32 s14, s14, 8
	s_addc_u32 s15, s15, 0
	v_or_b32_e32 v19, v21, v19
	s_or_b64 s[12:13], vcc, s[12:13]
	v_or_b32_e32 v18, v20, v18
	s_andn2_b64 exec, exec, s[12:13]
	s_cbranch_execnz .LBB26_320
; %bb.321:                              ;   in Loop: Header=BB26_285 Depth=1
	s_or_b64 exec, exec, s[12:13]
.LBB26_322:                             ;   in Loop: Header=BB26_285 Depth=1
	s_or_b64 exec, exec, s[10:11]
	s_mov_b32 s10, 0
                                        ; implicit-def: $vgpr9
.LBB26_323:                             ;   in Loop: Header=BB26_285 Depth=1
	s_or_saveexec_b64 s[0:1], s[0:1]
	v_mov_b32_e32 v8, s10
	s_xor_b64 exec, exec, s[0:1]
	s_cbranch_execz .LBB26_325
; %bb.324:                              ;   in Loop: Header=BB26_285 Depth=1
	flat_load_dwordx2 v[18:19], v[2:3]
	v_add_u32_e32 v8, -8, v9
	v_lshl_add_u64 v[2:3], v[2:3], 0, 8
	s_waitcnt vmcnt(0) lgkmcnt(0)
	v_and_b32_e32 v9, 0xff, v19
	v_and_b32_e32 v20, 0xff00, v19
	;; [unrolled: 1-line block ×4, first 2 shown]
	v_or_b32_e32 v9, v9, v20
	v_or3_b32 v18, v18, 0, 0
	v_or3_b32 v19, v9, v21, v19
.LBB26_325:                             ;   in Loop: Header=BB26_285 Depth=1
	s_or_b64 exec, exec, s[0:1]
	v_cmp_gt_u32_e32 vcc, 8, v8
                                        ; implicit-def: $vgpr20_vgpr21
                                        ; implicit-def: $sgpr10
	s_and_saveexec_b64 s[0:1], vcc
	s_xor_b64 s[0:1], exec, s[0:1]
	s_cbranch_execz .LBB26_331
; %bb.326:                              ;   in Loop: Header=BB26_285 Depth=1
	v_cmp_ne_u32_e32 vcc, 0, v8
	v_mov_b64_e32 v[20:21], 0
	s_and_saveexec_b64 s[10:11], vcc
	s_cbranch_execz .LBB26_330
; %bb.327:                              ;   in Loop: Header=BB26_285 Depth=1
	s_mov_b64 s[12:13], 0
	v_mov_b64_e32 v[20:21], 0
	s_mov_b64 s[14:15], 0
	s_mov_b64 s[16:17], 0
.LBB26_328:                             ;   Parent Loop BB26_285 Depth=1
                                        ; =>  This Inner Loop Header: Depth=2
	v_lshl_add_u64 v[22:23], v[2:3], 0, s[16:17]
	flat_load_ubyte v9, v[22:23]
	s_add_u32 s16, s16, 1
	v_mov_b32_e32 v23, s18
	s_addc_u32 s17, s17, 0
	v_cmp_eq_u32_e32 vcc, s16, v8
	s_waitcnt vmcnt(0) lgkmcnt(0)
	v_and_b32_e32 v22, 0xffff, v9
	v_lshlrev_b64 v[22:23], s14, v[22:23]
	s_add_u32 s14, s14, 8
	s_addc_u32 s15, s15, 0
	v_or_b32_e32 v21, v23, v21
	s_or_b64 s[12:13], vcc, s[12:13]
	v_or_b32_e32 v20, v22, v20
	s_andn2_b64 exec, exec, s[12:13]
	s_cbranch_execnz .LBB26_328
; %bb.329:                              ;   in Loop: Header=BB26_285 Depth=1
	s_or_b64 exec, exec, s[12:13]
.LBB26_330:                             ;   in Loop: Header=BB26_285 Depth=1
	s_or_b64 exec, exec, s[10:11]
	s_mov_b32 s10, 0
                                        ; implicit-def: $vgpr8
.LBB26_331:                             ;   in Loop: Header=BB26_285 Depth=1
	s_or_saveexec_b64 s[0:1], s[0:1]
	v_mov_b32_e32 v9, s10
	s_xor_b64 exec, exec, s[0:1]
	s_cbranch_execz .LBB26_333
; %bb.332:                              ;   in Loop: Header=BB26_285 Depth=1
	flat_load_dwordx2 v[20:21], v[2:3]
	v_add_u32_e32 v9, -8, v8
	v_lshl_add_u64 v[2:3], v[2:3], 0, 8
	s_waitcnt vmcnt(0) lgkmcnt(0)
	v_and_b32_e32 v8, 0xff, v21
	v_and_b32_e32 v22, 0xff00, v21
	;; [unrolled: 1-line block ×4, first 2 shown]
	v_or_b32_e32 v8, v8, v22
	v_or3_b32 v20, v20, 0, 0
	v_or3_b32 v21, v8, v23, v21
.LBB26_333:                             ;   in Loop: Header=BB26_285 Depth=1
	s_or_b64 exec, exec, s[0:1]
	v_cmp_gt_u32_e32 vcc, 8, v9
	s_and_saveexec_b64 s[0:1], vcc
	s_xor_b64 s[0:1], exec, s[0:1]
	s_cbranch_execz .LBB26_339
; %bb.334:                              ;   in Loop: Header=BB26_285 Depth=1
	v_cmp_ne_u32_e32 vcc, 0, v9
	v_mov_b64_e32 v[22:23], 0
	s_and_saveexec_b64 s[10:11], vcc
	s_cbranch_execz .LBB26_338
; %bb.335:                              ;   in Loop: Header=BB26_285 Depth=1
	s_mov_b64 s[12:13], 0
	v_mov_b64_e32 v[22:23], 0
	s_mov_b64 s[14:15], 0
.LBB26_336:                             ;   Parent Loop BB26_285 Depth=1
                                        ; =>  This Inner Loop Header: Depth=2
	flat_load_ubyte v8, v[2:3]
	v_mov_b32_e32 v25, s18
	v_add_u32_e32 v9, -1, v9
	v_cmp_eq_u32_e32 vcc, 0, v9
	v_lshl_add_u64 v[2:3], v[2:3], 0, 1
	s_waitcnt vmcnt(0) lgkmcnt(0)
	v_and_b32_e32 v24, 0xffff, v8
	v_lshlrev_b64 v[24:25], s14, v[24:25]
	s_add_u32 s14, s14, 8
	s_addc_u32 s15, s15, 0
	v_or_b32_e32 v23, v25, v23
	s_or_b64 s[12:13], vcc, s[12:13]
	v_or_b32_e32 v22, v24, v22
	s_andn2_b64 exec, exec, s[12:13]
	s_cbranch_execnz .LBB26_336
; %bb.337:                              ;   in Loop: Header=BB26_285 Depth=1
	s_or_b64 exec, exec, s[12:13]
.LBB26_338:                             ;   in Loop: Header=BB26_285 Depth=1
	s_or_b64 exec, exec, s[10:11]
                                        ; implicit-def: $vgpr2_vgpr3
.LBB26_339:                             ;   in Loop: Header=BB26_285 Depth=1
	s_andn2_saveexec_b64 s[0:1], s[0:1]
	s_cbranch_execz .LBB26_341
; %bb.340:                              ;   in Loop: Header=BB26_285 Depth=1
	flat_load_dwordx2 v[2:3], v[2:3]
	s_waitcnt vmcnt(0) lgkmcnt(0)
	v_and_b32_e32 v8, 0xff, v3
	v_and_b32_e32 v9, 0xff00, v3
	v_and_b32_e32 v22, 0xff0000, v3
	v_and_b32_e32 v3, 0xff000000, v3
	v_or_b32_e32 v8, v8, v9
	v_or3_b32 v23, v8, v22, v3
	v_or3_b32 v22, v2, 0, 0
.LBB26_341:                             ;   in Loop: Header=BB26_285 Depth=1
	s_or_b64 exec, exec, s[0:1]
	v_readfirstlane_b32 s0, v52
	v_mov_b64_e32 v[2:3], 0
	s_nop 0
	v_cmp_eq_u32_e64 s[0:1], s0, v52
	s_and_saveexec_b64 s[10:11], s[0:1]
	s_cbranch_execz .LBB26_347
; %bb.342:                              ;   in Loop: Header=BB26_285 Depth=1
	global_load_dwordx2 v[26:27], v35, s[2:3] offset:24 sc0 sc1
	s_waitcnt vmcnt(0)
	buffer_inv sc0 sc1
	global_load_dwordx2 v[2:3], v35, s[2:3] offset:40
	global_load_dwordx2 v[8:9], v35, s[2:3]
	s_waitcnt vmcnt(1)
	v_and_b32_e32 v2, v2, v26
	v_and_b32_e32 v3, v3, v27
	v_mul_lo_u32 v3, v3, 24
	v_mul_hi_u32 v24, v2, 24
	v_add_u32_e32 v3, v24, v3
	v_mul_lo_u32 v2, v2, 24
	s_waitcnt vmcnt(0)
	v_lshl_add_u64 v[2:3], v[8:9], 0, v[2:3]
	global_load_dwordx2 v[24:25], v[2:3], off sc0 sc1
	s_waitcnt vmcnt(0)
	global_atomic_cmpswap_x2 v[2:3], v35, v[24:27], s[2:3] offset:24 sc0 sc1
	s_waitcnt vmcnt(0)
	buffer_inv sc0 sc1
	v_cmp_ne_u64_e32 vcc, v[2:3], v[26:27]
	s_and_saveexec_b64 s[12:13], vcc
	s_cbranch_execz .LBB26_346
; %bb.343:                              ;   in Loop: Header=BB26_285 Depth=1
	s_mov_b64 s[14:15], 0
.LBB26_344:                             ;   Parent Loop BB26_285 Depth=1
                                        ; =>  This Inner Loop Header: Depth=2
	s_sleep 1
	global_load_dwordx2 v[8:9], v35, s[2:3] offset:40
	global_load_dwordx2 v[24:25], v35, s[2:3]
	v_mov_b64_e32 v[26:27], v[2:3]
	s_waitcnt vmcnt(1)
	v_and_b32_e32 v2, v8, v26
	s_waitcnt vmcnt(0)
	v_mad_u64_u32 v[2:3], s[16:17], v2, 24, v[24:25]
	v_and_b32_e32 v9, v9, v27
	v_mov_b32_e32 v8, v3
	v_mad_u64_u32 v[8:9], s[16:17], v9, 24, v[8:9]
	v_mov_b32_e32 v3, v8
	global_load_dwordx2 v[24:25], v[2:3], off sc0 sc1
	s_waitcnt vmcnt(0)
	global_atomic_cmpswap_x2 v[2:3], v35, v[24:27], s[2:3] offset:24 sc0 sc1
	s_waitcnt vmcnt(0)
	buffer_inv sc0 sc1
	v_cmp_eq_u64_e32 vcc, v[2:3], v[26:27]
	s_or_b64 s[14:15], vcc, s[14:15]
	s_andn2_b64 exec, exec, s[14:15]
	s_cbranch_execnz .LBB26_344
; %bb.345:                              ;   in Loop: Header=BB26_285 Depth=1
	s_or_b64 exec, exec, s[14:15]
.LBB26_346:                             ;   in Loop: Header=BB26_285 Depth=1
	s_or_b64 exec, exec, s[12:13]
.LBB26_347:                             ;   in Loop: Header=BB26_285 Depth=1
	s_or_b64 exec, exec, s[10:11]
	global_load_dwordx2 v[8:9], v35, s[2:3] offset:40
	global_load_dwordx4 v[24:27], v35, s[2:3]
	v_readfirstlane_b32 s10, v2
	v_readfirstlane_b32 s11, v3
	s_mov_b64 s[12:13], exec
	s_waitcnt vmcnt(1)
	v_readfirstlane_b32 s14, v8
	v_readfirstlane_b32 s15, v9
	s_and_b64 s[14:15], s[10:11], s[14:15]
	s_mul_i32 s16, s15, 24
	s_mul_hi_u32 s17, s14, 24
	s_add_i32 s17, s17, s16
	s_mul_i32 s16, s14, 24
	s_waitcnt vmcnt(0)
	v_lshl_add_u64 v[38:39], v[24:25], 0, s[16:17]
	s_and_saveexec_b64 s[16:17], s[0:1]
	s_cbranch_execz .LBB26_349
; %bb.348:                              ;   in Loop: Header=BB26_285 Depth=1
	v_mov_b64_e32 v[2:3], s[12:13]
	global_store_dwordx4 v[38:39], v[2:5], off offset:8
.LBB26_349:                             ;   in Loop: Header=BB26_285 Depth=1
	s_or_b64 exec, exec, s[16:17]
	s_nop 0
	v_or_b32_e32 v2, 0, v1
	v_cmp_lt_u64_e32 vcc, 56, v[28:29]
	s_lshl_b64 s[12:13], s[14:15], 12
	v_or_b32_e32 v3, v0, v30
	v_cndmask_b32_e32 v9, v2, v1, vcc
	v_lshl_add_u32 v1, v32, 2, 28
	v_lshl_add_u64 v[26:27], v[26:27], 0, s[12:13]
	v_cndmask_b32_e32 v0, v3, v0, vcc
	v_and_b32_e32 v1, 0x1e0, v1
	v_and_or_b32 v8, v0, s19, v1
	v_readfirstlane_b32 s12, v26
	v_readfirstlane_b32 s13, v27
	s_nop 4
	global_store_dwordx4 v34, v[8:11], s[12:13]
	global_store_dwordx4 v34, v[12:15], s[12:13] offset:16
	global_store_dwordx4 v34, v[16:19], s[12:13] offset:32
	;; [unrolled: 1-line block ×3, first 2 shown]
	s_and_saveexec_b64 s[12:13], s[0:1]
	s_cbranch_execz .LBB26_357
; %bb.350:                              ;   in Loop: Header=BB26_285 Depth=1
	global_load_dwordx2 v[12:13], v35, s[2:3] offset:32 sc0 sc1
	global_load_dwordx2 v[0:1], v35, s[2:3] offset:40
	v_mov_b32_e32 v10, s10
	v_mov_b32_e32 v11, s11
	s_waitcnt vmcnt(0)
	v_readfirstlane_b32 s14, v0
	v_readfirstlane_b32 s15, v1
	s_and_b64 s[14:15], s[14:15], s[10:11]
	s_mul_i32 s15, s15, 24
	s_mul_hi_u32 s16, s14, 24
	s_mul_i32 s14, s14, 24
	s_add_i32 s15, s16, s15
	v_lshl_add_u64 v[8:9], v[24:25], 0, s[14:15]
	global_store_dwordx2 v[8:9], v[12:13], off
	buffer_wbl2 sc0 sc1
	s_waitcnt vmcnt(0)
	global_atomic_cmpswap_x2 v[2:3], v35, v[10:13], s[2:3] offset:32 sc0 sc1
	s_waitcnt vmcnt(0)
	v_cmp_ne_u64_e32 vcc, v[2:3], v[12:13]
	s_and_saveexec_b64 s[14:15], vcc
	s_cbranch_execz .LBB26_353
; %bb.351:                              ;   in Loop: Header=BB26_285 Depth=1
	s_mov_b64 s[16:17], 0
.LBB26_352:                             ;   Parent Loop BB26_285 Depth=1
                                        ; =>  This Inner Loop Header: Depth=2
	s_sleep 1
	global_store_dwordx2 v[8:9], v[2:3], off
	v_mov_b32_e32 v0, s10
	v_mov_b32_e32 v1, s11
	buffer_wbl2 sc0 sc1
	s_waitcnt vmcnt(0)
	global_atomic_cmpswap_x2 v[0:1], v35, v[0:3], s[2:3] offset:32 sc0 sc1
	s_waitcnt vmcnt(0)
	v_cmp_eq_u64_e32 vcc, v[0:1], v[2:3]
	s_or_b64 s[16:17], vcc, s[16:17]
	v_mov_b64_e32 v[2:3], v[0:1]
	s_andn2_b64 exec, exec, s[16:17]
	s_cbranch_execnz .LBB26_352
.LBB26_353:                             ;   in Loop: Header=BB26_285 Depth=1
	s_or_b64 exec, exec, s[14:15]
	global_load_dwordx2 v[0:1], v35, s[2:3] offset:16
	s_mov_b64 s[16:17], exec
	v_mbcnt_lo_u32_b32 v2, s16, 0
	v_mbcnt_hi_u32_b32 v2, s17, v2
	v_cmp_eq_u32_e32 vcc, 0, v2
	s_and_saveexec_b64 s[14:15], vcc
	s_cbranch_execz .LBB26_355
; %bb.354:                              ;   in Loop: Header=BB26_285 Depth=1
	s_bcnt1_i32_b64 s16, s[16:17]
	v_mov_b32_e32 v2, s16
	v_mov_b32_e32 v3, v35
	buffer_wbl2 sc0 sc1
	s_waitcnt vmcnt(0)
	global_atomic_add_x2 v[0:1], v[2:3], off offset:8 sc1
.LBB26_355:                             ;   in Loop: Header=BB26_285 Depth=1
	s_or_b64 exec, exec, s[14:15]
	s_waitcnt vmcnt(0)
	global_load_dwordx2 v[2:3], v[0:1], off offset:16
	s_waitcnt vmcnt(0)
	v_cmp_eq_u64_e32 vcc, 0, v[2:3]
	s_cbranch_vccnz .LBB26_357
; %bb.356:                              ;   in Loop: Header=BB26_285 Depth=1
	global_load_dword v0, v[0:1], off offset:24
	v_mov_b32_e32 v1, v35
	buffer_wbl2 sc0 sc1
	s_waitcnt vmcnt(0)
	global_store_dwordx2 v[2:3], v[0:1], off sc0 sc1
	v_and_b32_e32 v0, 0xffffff, v0
	s_nop 0
	v_readfirstlane_b32 m0, v0
	s_sendmsg sendmsg(MSG_INTERRUPT)
.LBB26_357:                             ;   in Loop: Header=BB26_285 Depth=1
	s_or_b64 exec, exec, s[12:13]
	v_lshl_add_u64 v[0:1], v[26:27], 0, v[34:35]
	s_branch .LBB26_361
.LBB26_358:                             ;   in Loop: Header=BB26_361 Depth=2
	s_or_b64 exec, exec, s[12:13]
	v_readfirstlane_b32 s12, v2
	s_cmp_eq_u32 s12, 0
	s_cbranch_scc1 .LBB26_360
; %bb.359:                              ;   in Loop: Header=BB26_361 Depth=2
	s_sleep 1
	s_cbranch_execnz .LBB26_361
	s_branch .LBB26_363
.LBB26_360:                             ;   in Loop: Header=BB26_285 Depth=1
	s_branch .LBB26_363
.LBB26_361:                             ;   Parent Loop BB26_285 Depth=1
                                        ; =>  This Inner Loop Header: Depth=2
	v_mov_b32_e32 v2, 1
	s_and_saveexec_b64 s[12:13], s[0:1]
	s_cbranch_execz .LBB26_358
; %bb.362:                              ;   in Loop: Header=BB26_361 Depth=2
	global_load_dword v2, v[38:39], off offset:20 sc0 sc1
	s_waitcnt vmcnt(0)
	buffer_inv sc0 sc1
	v_and_b32_e32 v2, 1, v2
	s_branch .LBB26_358
.LBB26_363:                             ;   in Loop: Header=BB26_285 Depth=1
	global_load_dwordx4 v[0:3], v[0:1], off
	s_and_saveexec_b64 s[12:13], s[0:1]
	s_cbranch_execz .LBB26_284
; %bb.364:                              ;   in Loop: Header=BB26_285 Depth=1
	global_load_dwordx2 v[2:3], v35, s[2:3] offset:40
	global_load_dwordx2 v[12:13], v35, s[2:3] offset:24 sc0 sc1
	global_load_dwordx2 v[14:15], v35, s[2:3]
	s_waitcnt vmcnt(2)
	v_lshl_add_u64 v[8:9], v[2:3], 0, 1
	v_lshl_add_u64 v[16:17], v[8:9], 0, s[10:11]
	v_cmp_eq_u64_e32 vcc, 0, v[16:17]
	s_waitcnt vmcnt(1)
	v_mov_b32_e32 v10, v12
	v_cndmask_b32_e32 v9, v17, v9, vcc
	v_cndmask_b32_e32 v8, v16, v8, vcc
	v_and_b32_e32 v3, v9, v3
	v_and_b32_e32 v2, v8, v2
	v_mul_lo_u32 v3, v3, 24
	v_mul_hi_u32 v11, v2, 24
	v_mul_lo_u32 v2, v2, 24
	v_add_u32_e32 v3, v11, v3
	s_waitcnt vmcnt(0)
	v_lshl_add_u64 v[2:3], v[14:15], 0, v[2:3]
	global_store_dwordx2 v[2:3], v[12:13], off
	v_mov_b32_e32 v11, v13
	buffer_wbl2 sc0 sc1
	s_waitcnt vmcnt(0)
	global_atomic_cmpswap_x2 v[10:11], v35, v[8:11], s[2:3] offset:24 sc0 sc1
	s_waitcnt vmcnt(0)
	v_cmp_ne_u64_e32 vcc, v[10:11], v[12:13]
	s_and_b64 exec, exec, vcc
	s_cbranch_execz .LBB26_284
; %bb.365:                              ;   in Loop: Header=BB26_285 Depth=1
	s_mov_b64 s[0:1], 0
.LBB26_366:                             ;   Parent Loop BB26_285 Depth=1
                                        ; =>  This Inner Loop Header: Depth=2
	s_sleep 1
	global_store_dwordx2 v[2:3], v[10:11], off
	buffer_wbl2 sc0 sc1
	s_waitcnt vmcnt(0)
	global_atomic_cmpswap_x2 v[12:13], v35, v[8:11], s[2:3] offset:24 sc0 sc1
	s_waitcnt vmcnt(0)
	v_cmp_eq_u64_e32 vcc, v[12:13], v[10:11]
	s_or_b64 s[0:1], vcc, s[0:1]
	v_mov_b64_e32 v[10:11], v[12:13]
	s_andn2_b64 exec, exec, s[0:1]
	s_cbranch_execnz .LBB26_366
	s_branch .LBB26_284
.LBB26_367:
	s_or_b64 exec, exec, s[4:5]
                                        ; implicit-def: $vgpr34
                                        ; implicit-def: $vgpr52
.LBB26_368:
	s_andn2_saveexec_b64 s[4:5], s[6:7]
	s_cbranch_execz .LBB26_395
; %bb.369:
	v_readfirstlane_b32 s0, v52
	s_waitcnt vmcnt(0)
	v_mov_b64_e32 v[2:3], 0
	v_cmp_eq_u32_e64 s[0:1], s0, v52
	s_and_saveexec_b64 s[6:7], s[0:1]
	s_cbranch_execz .LBB26_375
; %bb.370:
	v_mov_b32_e32 v4, 0
	global_load_dwordx2 v[10:11], v4, s[2:3] offset:24 sc0 sc1
	s_waitcnt vmcnt(0)
	buffer_inv sc0 sc1
	global_load_dwordx2 v[2:3], v4, s[2:3] offset:40
	global_load_dwordx2 v[8:9], v4, s[2:3]
	s_waitcnt vmcnt(1)
	v_and_b32_e32 v2, v2, v10
	v_and_b32_e32 v3, v3, v11
	v_mul_lo_u32 v3, v3, 24
	v_mul_hi_u32 v5, v2, 24
	v_add_u32_e32 v3, v5, v3
	v_mul_lo_u32 v2, v2, 24
	s_waitcnt vmcnt(0)
	v_lshl_add_u64 v[2:3], v[8:9], 0, v[2:3]
	global_load_dwordx2 v[8:9], v[2:3], off sc0 sc1
	s_waitcnt vmcnt(0)
	global_atomic_cmpswap_x2 v[2:3], v4, v[8:11], s[2:3] offset:24 sc0 sc1
	s_waitcnt vmcnt(0)
	buffer_inv sc0 sc1
	v_cmp_ne_u64_e32 vcc, v[2:3], v[10:11]
	s_and_saveexec_b64 s[10:11], vcc
	s_cbranch_execz .LBB26_374
; %bb.371:
	s_mov_b64 s[12:13], 0
.LBB26_372:                             ; =>This Inner Loop Header: Depth=1
	s_sleep 1
	global_load_dwordx2 v[8:9], v4, s[2:3] offset:40
	global_load_dwordx2 v[12:13], v4, s[2:3]
	v_mov_b64_e32 v[10:11], v[2:3]
	s_waitcnt vmcnt(1)
	v_and_b32_e32 v2, v8, v10
	s_waitcnt vmcnt(0)
	v_mad_u64_u32 v[2:3], s[14:15], v2, 24, v[12:13]
	v_and_b32_e32 v5, v9, v11
	v_mov_b32_e32 v8, v3
	v_mad_u64_u32 v[8:9], s[14:15], v5, 24, v[8:9]
	v_mov_b32_e32 v3, v8
	global_load_dwordx2 v[8:9], v[2:3], off sc0 sc1
	s_waitcnt vmcnt(0)
	global_atomic_cmpswap_x2 v[2:3], v4, v[8:11], s[2:3] offset:24 sc0 sc1
	s_waitcnt vmcnt(0)
	buffer_inv sc0 sc1
	v_cmp_eq_u64_e32 vcc, v[2:3], v[10:11]
	s_or_b64 s[12:13], vcc, s[12:13]
	s_andn2_b64 exec, exec, s[12:13]
	s_cbranch_execnz .LBB26_372
; %bb.373:
	s_or_b64 exec, exec, s[12:13]
.LBB26_374:
	s_or_b64 exec, exec, s[10:11]
.LBB26_375:
	s_or_b64 exec, exec, s[6:7]
	v_mov_b32_e32 v35, 0
	global_load_dwordx2 v[4:5], v35, s[2:3] offset:40
	global_load_dwordx4 v[8:11], v35, s[2:3]
	v_readfirstlane_b32 s6, v2
	v_readfirstlane_b32 s7, v3
	s_mov_b64 s[10:11], exec
	s_waitcnt vmcnt(1)
	v_readfirstlane_b32 s12, v4
	v_readfirstlane_b32 s13, v5
	s_and_b64 s[12:13], s[6:7], s[12:13]
	s_mul_i32 s14, s13, 24
	s_mul_hi_u32 s15, s12, 24
	s_add_i32 s15, s15, s14
	s_mul_i32 s14, s12, 24
	s_waitcnt vmcnt(0)
	v_lshl_add_u64 v[4:5], v[8:9], 0, s[14:15]
	s_and_saveexec_b64 s[14:15], s[0:1]
	s_cbranch_execz .LBB26_377
; %bb.376:
	v_mov_b64_e32 v[12:13], s[10:11]
	v_mov_b32_e32 v14, 2
	v_mov_b32_e32 v15, 1
	global_store_dwordx4 v[4:5], v[12:15], off offset:8
.LBB26_377:
	s_or_b64 exec, exec, s[14:15]
	s_lshl_b64 s[10:11], s[12:13], 12
	v_lshl_add_u64 v[10:11], v[10:11], 0, s[10:11]
	s_movk_i32 s10, 0xff1f
	s_mov_b32 s12, 0
	v_and_or_b32 v0, v0, s10, 32
	v_mov_b32_e32 v2, v35
	v_mov_b32_e32 v3, v35
	v_readfirstlane_b32 s10, v10
	v_readfirstlane_b32 s11, v11
	s_mov_b32 s13, s12
	s_mov_b32 s14, s12
	;; [unrolled: 1-line block ×3, first 2 shown]
	s_nop 1
	global_store_dwordx4 v34, v[0:3], s[10:11]
	s_nop 1
	v_mov_b64_e32 v[0:1], s[12:13]
	v_mov_b64_e32 v[2:3], s[14:15]
	global_store_dwordx4 v34, v[0:3], s[10:11] offset:16
	global_store_dwordx4 v34, v[0:3], s[10:11] offset:32
	;; [unrolled: 1-line block ×3, first 2 shown]
	s_and_saveexec_b64 s[10:11], s[0:1]
	s_cbranch_execz .LBB26_385
; %bb.378:
	v_mov_b32_e32 v12, 0
	global_load_dwordx2 v[16:17], v12, s[2:3] offset:32 sc0 sc1
	global_load_dwordx2 v[0:1], v12, s[2:3] offset:40
	v_mov_b32_e32 v14, s6
	v_mov_b32_e32 v15, s7
	s_waitcnt vmcnt(0)
	v_readfirstlane_b32 s12, v0
	v_readfirstlane_b32 s13, v1
	s_and_b64 s[12:13], s[12:13], s[6:7]
	s_mul_i32 s13, s13, 24
	s_mul_hi_u32 s14, s12, 24
	s_mul_i32 s12, s12, 24
	s_add_i32 s13, s14, s13
	v_lshl_add_u64 v[8:9], v[8:9], 0, s[12:13]
	global_store_dwordx2 v[8:9], v[16:17], off
	buffer_wbl2 sc0 sc1
	s_waitcnt vmcnt(0)
	global_atomic_cmpswap_x2 v[2:3], v12, v[14:17], s[2:3] offset:32 sc0 sc1
	s_waitcnt vmcnt(0)
	v_cmp_ne_u64_e32 vcc, v[2:3], v[16:17]
	s_and_saveexec_b64 s[12:13], vcc
	s_cbranch_execz .LBB26_381
; %bb.379:
	s_mov_b64 s[14:15], 0
.LBB26_380:                             ; =>This Inner Loop Header: Depth=1
	s_sleep 1
	global_store_dwordx2 v[8:9], v[2:3], off
	v_mov_b32_e32 v0, s6
	v_mov_b32_e32 v1, s7
	buffer_wbl2 sc0 sc1
	s_waitcnt vmcnt(0)
	global_atomic_cmpswap_x2 v[0:1], v12, v[0:3], s[2:3] offset:32 sc0 sc1
	s_waitcnt vmcnt(0)
	v_cmp_eq_u64_e32 vcc, v[0:1], v[2:3]
	s_or_b64 s[14:15], vcc, s[14:15]
	v_mov_b64_e32 v[2:3], v[0:1]
	s_andn2_b64 exec, exec, s[14:15]
	s_cbranch_execnz .LBB26_380
.LBB26_381:
	s_or_b64 exec, exec, s[12:13]
	v_mov_b32_e32 v3, 0
	global_load_dwordx2 v[0:1], v3, s[2:3] offset:16
	s_mov_b64 s[12:13], exec
	v_mbcnt_lo_u32_b32 v2, s12, 0
	v_mbcnt_hi_u32_b32 v2, s13, v2
	v_cmp_eq_u32_e32 vcc, 0, v2
	s_and_saveexec_b64 s[14:15], vcc
	s_cbranch_execz .LBB26_383
; %bb.382:
	s_bcnt1_i32_b64 s12, s[12:13]
	v_mov_b32_e32 v2, s12
	buffer_wbl2 sc0 sc1
	s_waitcnt vmcnt(0)
	global_atomic_add_x2 v[0:1], v[2:3], off offset:8 sc1
.LBB26_383:
	s_or_b64 exec, exec, s[14:15]
	s_waitcnt vmcnt(0)
	global_load_dwordx2 v[2:3], v[0:1], off offset:16
	s_waitcnt vmcnt(0)
	v_cmp_eq_u64_e32 vcc, 0, v[2:3]
	s_cbranch_vccnz .LBB26_385
; %bb.384:
	global_load_dword v0, v[0:1], off offset:24
	v_mov_b32_e32 v1, 0
	buffer_wbl2 sc0 sc1
	s_waitcnt vmcnt(0)
	global_store_dwordx2 v[2:3], v[0:1], off sc0 sc1
	v_and_b32_e32 v0, 0xffffff, v0
	s_nop 0
	v_readfirstlane_b32 m0, v0
	s_sendmsg sendmsg(MSG_INTERRUPT)
.LBB26_385:
	s_or_b64 exec, exec, s[10:11]
	v_lshl_add_u64 v[0:1], v[10:11], 0, v[34:35]
	s_branch .LBB26_389
.LBB26_386:                             ;   in Loop: Header=BB26_389 Depth=1
	s_or_b64 exec, exec, s[10:11]
	v_readfirstlane_b32 s10, v2
	s_cmp_eq_u32 s10, 0
	s_cbranch_scc1 .LBB26_388
; %bb.387:                              ;   in Loop: Header=BB26_389 Depth=1
	s_sleep 1
	s_cbranch_execnz .LBB26_389
	s_branch .LBB26_391
.LBB26_388:
	s_branch .LBB26_391
.LBB26_389:                             ; =>This Inner Loop Header: Depth=1
	v_mov_b32_e32 v2, 1
	s_and_saveexec_b64 s[10:11], s[0:1]
	s_cbranch_execz .LBB26_386
; %bb.390:                              ;   in Loop: Header=BB26_389 Depth=1
	global_load_dword v2, v[4:5], off offset:20 sc0 sc1
	s_waitcnt vmcnt(0)
	buffer_inv sc0 sc1
	v_and_b32_e32 v2, 1, v2
	s_branch .LBB26_386
.LBB26_391:
	global_load_dwordx2 v[0:1], v[0:1], off
	s_and_saveexec_b64 s[10:11], s[0:1]
	s_cbranch_execz .LBB26_394
; %bb.392:
	v_mov_b32_e32 v10, 0
	global_load_dwordx2 v[8:9], v10, s[2:3] offset:40
	global_load_dwordx2 v[12:13], v10, s[2:3] offset:24 sc0 sc1
	global_load_dwordx2 v[14:15], v10, s[2:3]
	s_mov_b64 s[0:1], 0
	s_waitcnt vmcnt(2)
	v_lshl_add_u64 v[2:3], v[8:9], 0, 1
	v_lshl_add_u64 v[16:17], v[2:3], 0, s[6:7]
	v_cmp_eq_u64_e32 vcc, 0, v[16:17]
	s_waitcnt vmcnt(1)
	v_mov_b32_e32 v4, v12
	v_cndmask_b32_e32 v3, v17, v3, vcc
	v_cndmask_b32_e32 v2, v16, v2, vcc
	v_and_b32_e32 v5, v3, v9
	v_and_b32_e32 v8, v2, v8
	v_mul_lo_u32 v5, v5, 24
	v_mul_hi_u32 v9, v8, 24
	v_mul_lo_u32 v8, v8, 24
	v_add_u32_e32 v9, v9, v5
	s_waitcnt vmcnt(0)
	v_lshl_add_u64 v[8:9], v[14:15], 0, v[8:9]
	global_store_dwordx2 v[8:9], v[12:13], off
	v_mov_b32_e32 v5, v13
	buffer_wbl2 sc0 sc1
	s_waitcnt vmcnt(0)
	global_atomic_cmpswap_x2 v[4:5], v10, v[2:5], s[2:3] offset:24 sc0 sc1
	s_waitcnt vmcnt(0)
	v_cmp_ne_u64_e32 vcc, v[4:5], v[12:13]
	s_and_b64 exec, exec, vcc
	s_cbranch_execz .LBB26_394
.LBB26_393:                             ; =>This Inner Loop Header: Depth=1
	s_sleep 1
	global_store_dwordx2 v[8:9], v[4:5], off
	buffer_wbl2 sc0 sc1
	s_waitcnt vmcnt(0)
	global_atomic_cmpswap_x2 v[12:13], v10, v[2:5], s[2:3] offset:24 sc0 sc1
	s_waitcnt vmcnt(0)
	v_cmp_eq_u64_e32 vcc, v[12:13], v[4:5]
	s_or_b64 s[0:1], vcc, s[0:1]
	v_mov_b64_e32 v[4:5], v[12:13]
	s_andn2_b64 exec, exec, s[0:1]
	s_cbranch_execnz .LBB26_393
.LBB26_394:
	s_or_b64 exec, exec, s[10:11]
.LBB26_395:
	s_or_b64 exec, exec, s[4:5]
	s_mov_b64 s[0:1], 0
	s_waitcnt vmcnt(0)
	v_mov_b64_e32 v[2:3], v[6:7]
.LBB26_396:                             ; =>This Inner Loop Header: Depth=1
	flat_load_ubyte v4, v[2:3]
	v_lshl_add_u64 v[2:3], v[2:3], 0, 1
	s_waitcnt vmcnt(0) lgkmcnt(0)
	v_cmp_eq_u16_e32 vcc, 0, v4
	s_or_b64 s[0:1], vcc, s[0:1]
	s_andn2_b64 exec, exec, s[0:1]
	s_cbranch_execnz .LBB26_396
; %bb.397:
	s_or_b64 exec, exec, s[0:1]
	v_sub_u32_e32 v4, v2, v6
	v_ashrrev_i32_e32 v5, 31, v4
	v_mov_b32_e32 v2, v6
	v_mov_b32_e32 v3, v7
	v_mov_b32_e32 v6, 1
	s_getpc_b64 s[0:1]
	s_add_u32 s0, s0, __ockl_fprintf_append_string_n@rel32@lo+4
	s_addc_u32 s1, s1, __ockl_fprintf_append_string_n@rel32@hi+12
	s_swappc_b64 s[30:31], s[0:1]
	s_trap 2
.Lfunc_end26:
	.size	__assert_fail, .Lfunc_end26-__assert_fail
                                        ; -- End function
	.section	.AMDGPU.csdata,"",@progbits
; Function info:
; codeLenInByte = 15060
; NumSgprs: 40
; NumVgprs: 53
; NumAgprs: 0
; TotalNumVgprs: 53
; ScratchSize: 64
; MemoryBound: 0
	.section	.text._ZN4vllm18convert_fp8_kernelIhfLNS_18Fp8KVCacheDataTypeE0EEEvPKT0_PT_fl,"axG",@progbits,_ZN4vllm18convert_fp8_kernelIhfLNS_18Fp8KVCacheDataTypeE0EEEvPKT0_PT_fl,comdat
	.protected	_ZN4vllm18convert_fp8_kernelIhfLNS_18Fp8KVCacheDataTypeE0EEEvPKT0_PT_fl ; -- Begin function _ZN4vllm18convert_fp8_kernelIhfLNS_18Fp8KVCacheDataTypeE0EEEvPKT0_PT_fl
	.globl	_ZN4vllm18convert_fp8_kernelIhfLNS_18Fp8KVCacheDataTypeE0EEEvPKT0_PT_fl
	.p2align	8
	.type	_ZN4vllm18convert_fp8_kernelIhfLNS_18Fp8KVCacheDataTypeE0EEEvPKT0_PT_fl,@function
_ZN4vllm18convert_fp8_kernelIhfLNS_18Fp8KVCacheDataTypeE0EEEvPKT0_PT_fl: ; @_ZN4vllm18convert_fp8_kernelIhfLNS_18Fp8KVCacheDataTypeE0EEEvPKT0_PT_fl
; %bb.0:
	s_load_dwordx2 s[2:3], s[0:1], 0x18
	v_mov_b32_e32 v1, 0
	s_mov_b32 s32, 0
	s_waitcnt lgkmcnt(0)
	v_cmp_gt_i64_e32 vcc, s[2:3], v[0:1]
	s_and_saveexec_b64 s[2:3], vcc
	s_cbranch_execz .LBB27_2
; %bb.1:
	s_add_u32 s8, s0, 32
	s_addc_u32 s9, s1, 0
	s_getpc_b64 s[0:1]
	s_add_u32 s0, s0, .str@rel32@lo+4
	s_addc_u32 s1, s1, .str@rel32@hi+12
	s_getpc_b64 s[2:3]
	s_add_u32 s2, s2, .str.1@rel32@lo+4
	s_addc_u32 s3, s3, .str.1@rel32@hi+12
	s_getpc_b64 s[4:5]
	s_add_u32 s4, s4, __PRETTY_FUNCTION__._ZN4vllm3fp814scaled_convertIhfLNS_18Fp8KVCacheDataTypeE0EEET_RKT0_f@rel32@lo+4
	s_addc_u32 s5, s5, __PRETTY_FUNCTION__._ZN4vllm3fp814scaled_convertIhfLNS_18Fp8KVCacheDataTypeE0EEET_RKT0_f@rel32@hi+12
	v_mov_b32_e32 v0, s0
	v_mov_b32_e32 v1, s1
	;; [unrolled: 1-line block ×7, first 2 shown]
	s_getpc_b64 s[6:7]
	s_add_u32 s6, s6, __assert_fail@rel32@lo+4
	s_addc_u32 s7, s7, __assert_fail@rel32@hi+12
	s_swappc_b64 s[30:31], s[6:7]
	; divergent unreachable
.LBB27_2:
	s_endpgm
	.section	.rodata,"a",@progbits
	.p2align	6, 0x0
	.amdhsa_kernel _ZN4vllm18convert_fp8_kernelIhfLNS_18Fp8KVCacheDataTypeE0EEEvPKT0_PT_fl
		.amdhsa_group_segment_fixed_size 0
		.amdhsa_private_segment_fixed_size 64
		.amdhsa_kernarg_size 288
		.amdhsa_user_sgpr_count 2
		.amdhsa_user_sgpr_dispatch_ptr 0
		.amdhsa_user_sgpr_queue_ptr 0
		.amdhsa_user_sgpr_kernarg_segment_ptr 1
		.amdhsa_user_sgpr_dispatch_id 0
		.amdhsa_user_sgpr_kernarg_preload_length 0
		.amdhsa_user_sgpr_kernarg_preload_offset 0
		.amdhsa_user_sgpr_private_segment_size 0
		.amdhsa_uses_dynamic_stack 0
		.amdhsa_enable_private_segment 1
		.amdhsa_system_sgpr_workgroup_id_x 1
		.amdhsa_system_sgpr_workgroup_id_y 0
		.amdhsa_system_sgpr_workgroup_id_z 0
		.amdhsa_system_sgpr_workgroup_info 0
		.amdhsa_system_vgpr_workitem_id 0
		.amdhsa_next_free_vgpr 53
		.amdhsa_next_free_sgpr 34
		.amdhsa_accum_offset 56
		.amdhsa_reserve_vcc 1
		.amdhsa_float_round_mode_32 0
		.amdhsa_float_round_mode_16_64 0
		.amdhsa_float_denorm_mode_32 3
		.amdhsa_float_denorm_mode_16_64 3
		.amdhsa_dx10_clamp 1
		.amdhsa_ieee_mode 1
		.amdhsa_fp16_overflow 0
		.amdhsa_tg_split 0
		.amdhsa_exception_fp_ieee_invalid_op 0
		.amdhsa_exception_fp_denorm_src 0
		.amdhsa_exception_fp_ieee_div_zero 0
		.amdhsa_exception_fp_ieee_overflow 0
		.amdhsa_exception_fp_ieee_underflow 0
		.amdhsa_exception_fp_ieee_inexact 0
		.amdhsa_exception_int_div_zero 0
	.end_amdhsa_kernel
	.section	.text._ZN4vllm18convert_fp8_kernelIhfLNS_18Fp8KVCacheDataTypeE0EEEvPKT0_PT_fl,"axG",@progbits,_ZN4vllm18convert_fp8_kernelIhfLNS_18Fp8KVCacheDataTypeE0EEEvPKT0_PT_fl,comdat
.Lfunc_end27:
	.size	_ZN4vllm18convert_fp8_kernelIhfLNS_18Fp8KVCacheDataTypeE0EEEvPKT0_PT_fl, .Lfunc_end27-_ZN4vllm18convert_fp8_kernelIhfLNS_18Fp8KVCacheDataTypeE0EEEvPKT0_PT_fl
                                        ; -- End function
	.section	.AMDGPU.csdata,"",@progbits
; Kernel info:
; codeLenInByte = 160
; NumSgprs: 40
; NumVgprs: 53
; NumAgprs: 0
; TotalNumVgprs: 53
; ScratchSize: 64
; MemoryBound: 0
; FloatMode: 240
; IeeeMode: 1
; LDSByteSize: 0 bytes/workgroup (compile time only)
; SGPRBlocks: 4
; VGPRBlocks: 6
; NumSGPRsForWavesPerEU: 40
; NumVGPRsForWavesPerEU: 53
; AccumOffset: 56
; Occupancy: 8
; WaveLimiterHint : 1
; COMPUTE_PGM_RSRC2:SCRATCH_EN: 1
; COMPUTE_PGM_RSRC2:USER_SGPR: 2
; COMPUTE_PGM_RSRC2:TRAP_HANDLER: 0
; COMPUTE_PGM_RSRC2:TGID_X_EN: 1
; COMPUTE_PGM_RSRC2:TGID_Y_EN: 0
; COMPUTE_PGM_RSRC2:TGID_Z_EN: 0
; COMPUTE_PGM_RSRC2:TIDIG_COMP_CNT: 0
; COMPUTE_PGM_RSRC3_GFX90A:ACCUM_OFFSET: 13
; COMPUTE_PGM_RSRC3_GFX90A:TG_SPLIT: 0
	.section	.text._ZN4vllm18convert_fp8_kernelIhtLNS_18Fp8KVCacheDataTypeE0EEEvPKT0_PT_fl,"axG",@progbits,_ZN4vllm18convert_fp8_kernelIhtLNS_18Fp8KVCacheDataTypeE0EEEvPKT0_PT_fl,comdat
	.protected	_ZN4vllm18convert_fp8_kernelIhtLNS_18Fp8KVCacheDataTypeE0EEEvPKT0_PT_fl ; -- Begin function _ZN4vllm18convert_fp8_kernelIhtLNS_18Fp8KVCacheDataTypeE0EEEvPKT0_PT_fl
	.globl	_ZN4vllm18convert_fp8_kernelIhtLNS_18Fp8KVCacheDataTypeE0EEEvPKT0_PT_fl
	.p2align	8
	.type	_ZN4vllm18convert_fp8_kernelIhtLNS_18Fp8KVCacheDataTypeE0EEEvPKT0_PT_fl,@function
_ZN4vllm18convert_fp8_kernelIhtLNS_18Fp8KVCacheDataTypeE0EEEvPKT0_PT_fl: ; @_ZN4vllm18convert_fp8_kernelIhtLNS_18Fp8KVCacheDataTypeE0EEEvPKT0_PT_fl
; %bb.0:
	s_load_dwordx2 s[2:3], s[0:1], 0x18
	v_mov_b32_e32 v1, 0
	s_mov_b32 s32, 0
	s_waitcnt lgkmcnt(0)
	v_cmp_gt_i64_e32 vcc, s[2:3], v[0:1]
	s_and_saveexec_b64 s[2:3], vcc
	s_cbranch_execz .LBB28_2
; %bb.1:
	s_add_u32 s8, s0, 32
	s_addc_u32 s9, s1, 0
	s_getpc_b64 s[0:1]
	s_add_u32 s0, s0, .str@rel32@lo+4
	s_addc_u32 s1, s1, .str@rel32@hi+12
	s_getpc_b64 s[2:3]
	s_add_u32 s2, s2, .str.1@rel32@lo+4
	s_addc_u32 s3, s3, .str.1@rel32@hi+12
	s_getpc_b64 s[4:5]
	s_add_u32 s4, s4, __PRETTY_FUNCTION__._ZN4vllm3fp814scaled_convertIhtLNS_18Fp8KVCacheDataTypeE0EEET_RKT0_f@rel32@lo+4
	s_addc_u32 s5, s5, __PRETTY_FUNCTION__._ZN4vllm3fp814scaled_convertIhtLNS_18Fp8KVCacheDataTypeE0EEET_RKT0_f@rel32@hi+12
	v_mov_b32_e32 v0, s0
	v_mov_b32_e32 v1, s1
	;; [unrolled: 1-line block ×7, first 2 shown]
	s_getpc_b64 s[6:7]
	s_add_u32 s6, s6, __assert_fail@rel32@lo+4
	s_addc_u32 s7, s7, __assert_fail@rel32@hi+12
	s_swappc_b64 s[30:31], s[6:7]
	; divergent unreachable
.LBB28_2:
	s_endpgm
	.section	.rodata,"a",@progbits
	.p2align	6, 0x0
	.amdhsa_kernel _ZN4vllm18convert_fp8_kernelIhtLNS_18Fp8KVCacheDataTypeE0EEEvPKT0_PT_fl
		.amdhsa_group_segment_fixed_size 0
		.amdhsa_private_segment_fixed_size 64
		.amdhsa_kernarg_size 288
		.amdhsa_user_sgpr_count 2
		.amdhsa_user_sgpr_dispatch_ptr 0
		.amdhsa_user_sgpr_queue_ptr 0
		.amdhsa_user_sgpr_kernarg_segment_ptr 1
		.amdhsa_user_sgpr_dispatch_id 0
		.amdhsa_user_sgpr_kernarg_preload_length 0
		.amdhsa_user_sgpr_kernarg_preload_offset 0
		.amdhsa_user_sgpr_private_segment_size 0
		.amdhsa_uses_dynamic_stack 0
		.amdhsa_enable_private_segment 1
		.amdhsa_system_sgpr_workgroup_id_x 1
		.amdhsa_system_sgpr_workgroup_id_y 0
		.amdhsa_system_sgpr_workgroup_id_z 0
		.amdhsa_system_sgpr_workgroup_info 0
		.amdhsa_system_vgpr_workitem_id 0
		.amdhsa_next_free_vgpr 53
		.amdhsa_next_free_sgpr 34
		.amdhsa_accum_offset 56
		.amdhsa_reserve_vcc 1
		.amdhsa_float_round_mode_32 0
		.amdhsa_float_round_mode_16_64 0
		.amdhsa_float_denorm_mode_32 3
		.amdhsa_float_denorm_mode_16_64 3
		.amdhsa_dx10_clamp 1
		.amdhsa_ieee_mode 1
		.amdhsa_fp16_overflow 0
		.amdhsa_tg_split 0
		.amdhsa_exception_fp_ieee_invalid_op 0
		.amdhsa_exception_fp_denorm_src 0
		.amdhsa_exception_fp_ieee_div_zero 0
		.amdhsa_exception_fp_ieee_overflow 0
		.amdhsa_exception_fp_ieee_underflow 0
		.amdhsa_exception_fp_ieee_inexact 0
		.amdhsa_exception_int_div_zero 0
	.end_amdhsa_kernel
	.section	.text._ZN4vllm18convert_fp8_kernelIhtLNS_18Fp8KVCacheDataTypeE0EEEvPKT0_PT_fl,"axG",@progbits,_ZN4vllm18convert_fp8_kernelIhtLNS_18Fp8KVCacheDataTypeE0EEEvPKT0_PT_fl,comdat
.Lfunc_end28:
	.size	_ZN4vllm18convert_fp8_kernelIhtLNS_18Fp8KVCacheDataTypeE0EEEvPKT0_PT_fl, .Lfunc_end28-_ZN4vllm18convert_fp8_kernelIhtLNS_18Fp8KVCacheDataTypeE0EEEvPKT0_PT_fl
                                        ; -- End function
	.section	.AMDGPU.csdata,"",@progbits
; Kernel info:
; codeLenInByte = 160
; NumSgprs: 40
; NumVgprs: 53
; NumAgprs: 0
; TotalNumVgprs: 53
; ScratchSize: 64
; MemoryBound: 0
; FloatMode: 240
; IeeeMode: 1
; LDSByteSize: 0 bytes/workgroup (compile time only)
; SGPRBlocks: 4
; VGPRBlocks: 6
; NumSGPRsForWavesPerEU: 40
; NumVGPRsForWavesPerEU: 53
; AccumOffset: 56
; Occupancy: 8
; WaveLimiterHint : 1
; COMPUTE_PGM_RSRC2:SCRATCH_EN: 1
; COMPUTE_PGM_RSRC2:USER_SGPR: 2
; COMPUTE_PGM_RSRC2:TRAP_HANDLER: 0
; COMPUTE_PGM_RSRC2:TGID_X_EN: 1
; COMPUTE_PGM_RSRC2:TGID_Y_EN: 0
; COMPUTE_PGM_RSRC2:TGID_Z_EN: 0
; COMPUTE_PGM_RSRC2:TIDIG_COMP_CNT: 0
; COMPUTE_PGM_RSRC3_GFX90A:ACCUM_OFFSET: 13
; COMPUTE_PGM_RSRC3_GFX90A:TG_SPLIT: 0
	.section	.text._ZN4vllm18convert_fp8_kernelIh14__hip_bfloat16LNS_18Fp8KVCacheDataTypeE0EEEvPKT0_PT_fl,"axG",@progbits,_ZN4vllm18convert_fp8_kernelIh14__hip_bfloat16LNS_18Fp8KVCacheDataTypeE0EEEvPKT0_PT_fl,comdat
	.protected	_ZN4vllm18convert_fp8_kernelIh14__hip_bfloat16LNS_18Fp8KVCacheDataTypeE0EEEvPKT0_PT_fl ; -- Begin function _ZN4vllm18convert_fp8_kernelIh14__hip_bfloat16LNS_18Fp8KVCacheDataTypeE0EEEvPKT0_PT_fl
	.globl	_ZN4vllm18convert_fp8_kernelIh14__hip_bfloat16LNS_18Fp8KVCacheDataTypeE0EEEvPKT0_PT_fl
	.p2align	8
	.type	_ZN4vllm18convert_fp8_kernelIh14__hip_bfloat16LNS_18Fp8KVCacheDataTypeE0EEEvPKT0_PT_fl,@function
_ZN4vllm18convert_fp8_kernelIh14__hip_bfloat16LNS_18Fp8KVCacheDataTypeE0EEEvPKT0_PT_fl: ; @_ZN4vllm18convert_fp8_kernelIh14__hip_bfloat16LNS_18Fp8KVCacheDataTypeE0EEEvPKT0_PT_fl
; %bb.0:
	s_load_dwordx2 s[2:3], s[0:1], 0x18
	v_mov_b32_e32 v1, 0
	s_mov_b32 s32, 0
	s_waitcnt lgkmcnt(0)
	v_cmp_gt_i64_e32 vcc, s[2:3], v[0:1]
	s_and_saveexec_b64 s[2:3], vcc
	s_cbranch_execz .LBB29_2
; %bb.1:
	s_add_u32 s8, s0, 32
	s_addc_u32 s9, s1, 0
	s_getpc_b64 s[0:1]
	s_add_u32 s0, s0, .str@rel32@lo+4
	s_addc_u32 s1, s1, .str@rel32@hi+12
	s_getpc_b64 s[2:3]
	s_add_u32 s2, s2, .str.1@rel32@lo+4
	s_addc_u32 s3, s3, .str.1@rel32@hi+12
	s_getpc_b64 s[4:5]
	s_add_u32 s4, s4, __PRETTY_FUNCTION__._ZN4vllm3fp814scaled_convertIh14__hip_bfloat16LNS_18Fp8KVCacheDataTypeE0EEET_RKT0_f@rel32@lo+4
	s_addc_u32 s5, s5, __PRETTY_FUNCTION__._ZN4vllm3fp814scaled_convertIh14__hip_bfloat16LNS_18Fp8KVCacheDataTypeE0EEET_RKT0_f@rel32@hi+12
	v_mov_b32_e32 v0, s0
	v_mov_b32_e32 v1, s1
	;; [unrolled: 1-line block ×7, first 2 shown]
	s_getpc_b64 s[6:7]
	s_add_u32 s6, s6, __assert_fail@rel32@lo+4
	s_addc_u32 s7, s7, __assert_fail@rel32@hi+12
	s_swappc_b64 s[30:31], s[6:7]
	; divergent unreachable
.LBB29_2:
	s_endpgm
	.section	.rodata,"a",@progbits
	.p2align	6, 0x0
	.amdhsa_kernel _ZN4vllm18convert_fp8_kernelIh14__hip_bfloat16LNS_18Fp8KVCacheDataTypeE0EEEvPKT0_PT_fl
		.amdhsa_group_segment_fixed_size 0
		.amdhsa_private_segment_fixed_size 64
		.amdhsa_kernarg_size 288
		.amdhsa_user_sgpr_count 2
		.amdhsa_user_sgpr_dispatch_ptr 0
		.amdhsa_user_sgpr_queue_ptr 0
		.amdhsa_user_sgpr_kernarg_segment_ptr 1
		.amdhsa_user_sgpr_dispatch_id 0
		.amdhsa_user_sgpr_kernarg_preload_length 0
		.amdhsa_user_sgpr_kernarg_preload_offset 0
		.amdhsa_user_sgpr_private_segment_size 0
		.amdhsa_uses_dynamic_stack 0
		.amdhsa_enable_private_segment 1
		.amdhsa_system_sgpr_workgroup_id_x 1
		.amdhsa_system_sgpr_workgroup_id_y 0
		.amdhsa_system_sgpr_workgroup_id_z 0
		.amdhsa_system_sgpr_workgroup_info 0
		.amdhsa_system_vgpr_workitem_id 0
		.amdhsa_next_free_vgpr 53
		.amdhsa_next_free_sgpr 34
		.amdhsa_accum_offset 56
		.amdhsa_reserve_vcc 1
		.amdhsa_float_round_mode_32 0
		.amdhsa_float_round_mode_16_64 0
		.amdhsa_float_denorm_mode_32 3
		.amdhsa_float_denorm_mode_16_64 3
		.amdhsa_dx10_clamp 1
		.amdhsa_ieee_mode 1
		.amdhsa_fp16_overflow 0
		.amdhsa_tg_split 0
		.amdhsa_exception_fp_ieee_invalid_op 0
		.amdhsa_exception_fp_denorm_src 0
		.amdhsa_exception_fp_ieee_div_zero 0
		.amdhsa_exception_fp_ieee_overflow 0
		.amdhsa_exception_fp_ieee_underflow 0
		.amdhsa_exception_fp_ieee_inexact 0
		.amdhsa_exception_int_div_zero 0
	.end_amdhsa_kernel
	.section	.text._ZN4vllm18convert_fp8_kernelIh14__hip_bfloat16LNS_18Fp8KVCacheDataTypeE0EEEvPKT0_PT_fl,"axG",@progbits,_ZN4vllm18convert_fp8_kernelIh14__hip_bfloat16LNS_18Fp8KVCacheDataTypeE0EEEvPKT0_PT_fl,comdat
.Lfunc_end29:
	.size	_ZN4vllm18convert_fp8_kernelIh14__hip_bfloat16LNS_18Fp8KVCacheDataTypeE0EEEvPKT0_PT_fl, .Lfunc_end29-_ZN4vllm18convert_fp8_kernelIh14__hip_bfloat16LNS_18Fp8KVCacheDataTypeE0EEEvPKT0_PT_fl
                                        ; -- End function
	.section	.AMDGPU.csdata,"",@progbits
; Kernel info:
; codeLenInByte = 160
; NumSgprs: 40
; NumVgprs: 53
; NumAgprs: 0
; TotalNumVgprs: 53
; ScratchSize: 64
; MemoryBound: 0
; FloatMode: 240
; IeeeMode: 1
; LDSByteSize: 0 bytes/workgroup (compile time only)
; SGPRBlocks: 4
; VGPRBlocks: 6
; NumSGPRsForWavesPerEU: 40
; NumVGPRsForWavesPerEU: 53
; AccumOffset: 56
; Occupancy: 8
; WaveLimiterHint : 1
; COMPUTE_PGM_RSRC2:SCRATCH_EN: 1
; COMPUTE_PGM_RSRC2:USER_SGPR: 2
; COMPUTE_PGM_RSRC2:TRAP_HANDLER: 0
; COMPUTE_PGM_RSRC2:TGID_X_EN: 1
; COMPUTE_PGM_RSRC2:TGID_Y_EN: 0
; COMPUTE_PGM_RSRC2:TGID_Z_EN: 0
; COMPUTE_PGM_RSRC2:TIDIG_COMP_CNT: 0
; COMPUTE_PGM_RSRC3_GFX90A:ACCUM_OFFSET: 13
; COMPUTE_PGM_RSRC3_GFX90A:TG_SPLIT: 0
	.section	.text._ZN4vllm18convert_fp8_kernelIfhLNS_18Fp8KVCacheDataTypeE0EEEvPKT0_PT_fl,"axG",@progbits,_ZN4vllm18convert_fp8_kernelIfhLNS_18Fp8KVCacheDataTypeE0EEEvPKT0_PT_fl,comdat
	.protected	_ZN4vllm18convert_fp8_kernelIfhLNS_18Fp8KVCacheDataTypeE0EEEvPKT0_PT_fl ; -- Begin function _ZN4vllm18convert_fp8_kernelIfhLNS_18Fp8KVCacheDataTypeE0EEEvPKT0_PT_fl
	.globl	_ZN4vllm18convert_fp8_kernelIfhLNS_18Fp8KVCacheDataTypeE0EEEvPKT0_PT_fl
	.p2align	8
	.type	_ZN4vllm18convert_fp8_kernelIfhLNS_18Fp8KVCacheDataTypeE0EEEvPKT0_PT_fl,@function
_ZN4vllm18convert_fp8_kernelIfhLNS_18Fp8KVCacheDataTypeE0EEEvPKT0_PT_fl: ; @_ZN4vllm18convert_fp8_kernelIfhLNS_18Fp8KVCacheDataTypeE0EEEvPKT0_PT_fl
; %bb.0:
	s_load_dwordx2 s[2:3], s[0:1], 0x18
	v_mov_b32_e32 v1, 0
	s_mov_b32 s32, 0
	s_waitcnt lgkmcnt(0)
	v_cmp_gt_i64_e32 vcc, s[2:3], v[0:1]
	s_and_saveexec_b64 s[2:3], vcc
	s_cbranch_execz .LBB30_2
; %bb.1:
	s_add_u32 s8, s0, 32
	s_addc_u32 s9, s1, 0
	s_getpc_b64 s[0:1]
	s_add_u32 s0, s0, .str@rel32@lo+4
	s_addc_u32 s1, s1, .str@rel32@hi+12
	s_getpc_b64 s[2:3]
	s_add_u32 s2, s2, .str.1@rel32@lo+4
	s_addc_u32 s3, s3, .str.1@rel32@hi+12
	s_getpc_b64 s[4:5]
	s_add_u32 s4, s4, __PRETTY_FUNCTION__._ZN4vllm3fp814scaled_convertIfhLNS_18Fp8KVCacheDataTypeE0EEET_RKT0_f@rel32@lo+4
	s_addc_u32 s5, s5, __PRETTY_FUNCTION__._ZN4vllm3fp814scaled_convertIfhLNS_18Fp8KVCacheDataTypeE0EEET_RKT0_f@rel32@hi+12
	v_mov_b32_e32 v0, s0
	v_mov_b32_e32 v1, s1
	;; [unrolled: 1-line block ×7, first 2 shown]
	s_getpc_b64 s[6:7]
	s_add_u32 s6, s6, __assert_fail@rel32@lo+4
	s_addc_u32 s7, s7, __assert_fail@rel32@hi+12
	s_swappc_b64 s[30:31], s[6:7]
	; divergent unreachable
.LBB30_2:
	s_endpgm
	.section	.rodata,"a",@progbits
	.p2align	6, 0x0
	.amdhsa_kernel _ZN4vllm18convert_fp8_kernelIfhLNS_18Fp8KVCacheDataTypeE0EEEvPKT0_PT_fl
		.amdhsa_group_segment_fixed_size 0
		.amdhsa_private_segment_fixed_size 64
		.amdhsa_kernarg_size 288
		.amdhsa_user_sgpr_count 2
		.amdhsa_user_sgpr_dispatch_ptr 0
		.amdhsa_user_sgpr_queue_ptr 0
		.amdhsa_user_sgpr_kernarg_segment_ptr 1
		.amdhsa_user_sgpr_dispatch_id 0
		.amdhsa_user_sgpr_kernarg_preload_length 0
		.amdhsa_user_sgpr_kernarg_preload_offset 0
		.amdhsa_user_sgpr_private_segment_size 0
		.amdhsa_uses_dynamic_stack 0
		.amdhsa_enable_private_segment 1
		.amdhsa_system_sgpr_workgroup_id_x 1
		.amdhsa_system_sgpr_workgroup_id_y 0
		.amdhsa_system_sgpr_workgroup_id_z 0
		.amdhsa_system_sgpr_workgroup_info 0
		.amdhsa_system_vgpr_workitem_id 0
		.amdhsa_next_free_vgpr 53
		.amdhsa_next_free_sgpr 34
		.amdhsa_accum_offset 56
		.amdhsa_reserve_vcc 1
		.amdhsa_float_round_mode_32 0
		.amdhsa_float_round_mode_16_64 0
		.amdhsa_float_denorm_mode_32 3
		.amdhsa_float_denorm_mode_16_64 3
		.amdhsa_dx10_clamp 1
		.amdhsa_ieee_mode 1
		.amdhsa_fp16_overflow 0
		.amdhsa_tg_split 0
		.amdhsa_exception_fp_ieee_invalid_op 0
		.amdhsa_exception_fp_denorm_src 0
		.amdhsa_exception_fp_ieee_div_zero 0
		.amdhsa_exception_fp_ieee_overflow 0
		.amdhsa_exception_fp_ieee_underflow 0
		.amdhsa_exception_fp_ieee_inexact 0
		.amdhsa_exception_int_div_zero 0
	.end_amdhsa_kernel
	.section	.text._ZN4vllm18convert_fp8_kernelIfhLNS_18Fp8KVCacheDataTypeE0EEEvPKT0_PT_fl,"axG",@progbits,_ZN4vllm18convert_fp8_kernelIfhLNS_18Fp8KVCacheDataTypeE0EEEvPKT0_PT_fl,comdat
.Lfunc_end30:
	.size	_ZN4vllm18convert_fp8_kernelIfhLNS_18Fp8KVCacheDataTypeE0EEEvPKT0_PT_fl, .Lfunc_end30-_ZN4vllm18convert_fp8_kernelIfhLNS_18Fp8KVCacheDataTypeE0EEEvPKT0_PT_fl
                                        ; -- End function
	.section	.AMDGPU.csdata,"",@progbits
; Kernel info:
; codeLenInByte = 160
; NumSgprs: 40
; NumVgprs: 53
; NumAgprs: 0
; TotalNumVgprs: 53
; ScratchSize: 64
; MemoryBound: 0
; FloatMode: 240
; IeeeMode: 1
; LDSByteSize: 0 bytes/workgroup (compile time only)
; SGPRBlocks: 4
; VGPRBlocks: 6
; NumSGPRsForWavesPerEU: 40
; NumVGPRsForWavesPerEU: 53
; AccumOffset: 56
; Occupancy: 8
; WaveLimiterHint : 1
; COMPUTE_PGM_RSRC2:SCRATCH_EN: 1
; COMPUTE_PGM_RSRC2:USER_SGPR: 2
; COMPUTE_PGM_RSRC2:TRAP_HANDLER: 0
; COMPUTE_PGM_RSRC2:TGID_X_EN: 1
; COMPUTE_PGM_RSRC2:TGID_Y_EN: 0
; COMPUTE_PGM_RSRC2:TGID_Z_EN: 0
; COMPUTE_PGM_RSRC2:TIDIG_COMP_CNT: 0
; COMPUTE_PGM_RSRC3_GFX90A:ACCUM_OFFSET: 13
; COMPUTE_PGM_RSRC3_GFX90A:TG_SPLIT: 0
	.section	.text._ZN4vllm18convert_fp8_kernelIthLNS_18Fp8KVCacheDataTypeE0EEEvPKT0_PT_fl,"axG",@progbits,_ZN4vllm18convert_fp8_kernelIthLNS_18Fp8KVCacheDataTypeE0EEEvPKT0_PT_fl,comdat
	.protected	_ZN4vllm18convert_fp8_kernelIthLNS_18Fp8KVCacheDataTypeE0EEEvPKT0_PT_fl ; -- Begin function _ZN4vllm18convert_fp8_kernelIthLNS_18Fp8KVCacheDataTypeE0EEEvPKT0_PT_fl
	.globl	_ZN4vllm18convert_fp8_kernelIthLNS_18Fp8KVCacheDataTypeE0EEEvPKT0_PT_fl
	.p2align	8
	.type	_ZN4vllm18convert_fp8_kernelIthLNS_18Fp8KVCacheDataTypeE0EEEvPKT0_PT_fl,@function
_ZN4vllm18convert_fp8_kernelIthLNS_18Fp8KVCacheDataTypeE0EEEvPKT0_PT_fl: ; @_ZN4vllm18convert_fp8_kernelIthLNS_18Fp8KVCacheDataTypeE0EEEvPKT0_PT_fl
; %bb.0:
	s_load_dwordx2 s[2:3], s[0:1], 0x18
	v_mov_b32_e32 v1, 0
	s_mov_b32 s32, 0
	s_waitcnt lgkmcnt(0)
	v_cmp_gt_i64_e32 vcc, s[2:3], v[0:1]
	s_and_saveexec_b64 s[2:3], vcc
	s_cbranch_execz .LBB31_2
; %bb.1:
	s_add_u32 s8, s0, 32
	s_addc_u32 s9, s1, 0
	s_getpc_b64 s[0:1]
	s_add_u32 s0, s0, .str@rel32@lo+4
	s_addc_u32 s1, s1, .str@rel32@hi+12
	s_getpc_b64 s[2:3]
	s_add_u32 s2, s2, .str.1@rel32@lo+4
	s_addc_u32 s3, s3, .str.1@rel32@hi+12
	s_getpc_b64 s[4:5]
	s_add_u32 s4, s4, __PRETTY_FUNCTION__._ZN4vllm3fp814scaled_convertIthLNS_18Fp8KVCacheDataTypeE0EEET_RKT0_f@rel32@lo+4
	s_addc_u32 s5, s5, __PRETTY_FUNCTION__._ZN4vllm3fp814scaled_convertIthLNS_18Fp8KVCacheDataTypeE0EEET_RKT0_f@rel32@hi+12
	v_mov_b32_e32 v0, s0
	v_mov_b32_e32 v1, s1
	;; [unrolled: 1-line block ×7, first 2 shown]
	s_getpc_b64 s[6:7]
	s_add_u32 s6, s6, __assert_fail@rel32@lo+4
	s_addc_u32 s7, s7, __assert_fail@rel32@hi+12
	s_swappc_b64 s[30:31], s[6:7]
	; divergent unreachable
.LBB31_2:
	s_endpgm
	.section	.rodata,"a",@progbits
	.p2align	6, 0x0
	.amdhsa_kernel _ZN4vllm18convert_fp8_kernelIthLNS_18Fp8KVCacheDataTypeE0EEEvPKT0_PT_fl
		.amdhsa_group_segment_fixed_size 0
		.amdhsa_private_segment_fixed_size 64
		.amdhsa_kernarg_size 288
		.amdhsa_user_sgpr_count 2
		.amdhsa_user_sgpr_dispatch_ptr 0
		.amdhsa_user_sgpr_queue_ptr 0
		.amdhsa_user_sgpr_kernarg_segment_ptr 1
		.amdhsa_user_sgpr_dispatch_id 0
		.amdhsa_user_sgpr_kernarg_preload_length 0
		.amdhsa_user_sgpr_kernarg_preload_offset 0
		.amdhsa_user_sgpr_private_segment_size 0
		.amdhsa_uses_dynamic_stack 0
		.amdhsa_enable_private_segment 1
		.amdhsa_system_sgpr_workgroup_id_x 1
		.amdhsa_system_sgpr_workgroup_id_y 0
		.amdhsa_system_sgpr_workgroup_id_z 0
		.amdhsa_system_sgpr_workgroup_info 0
		.amdhsa_system_vgpr_workitem_id 0
		.amdhsa_next_free_vgpr 53
		.amdhsa_next_free_sgpr 34
		.amdhsa_accum_offset 56
		.amdhsa_reserve_vcc 1
		.amdhsa_float_round_mode_32 0
		.amdhsa_float_round_mode_16_64 0
		.amdhsa_float_denorm_mode_32 3
		.amdhsa_float_denorm_mode_16_64 3
		.amdhsa_dx10_clamp 1
		.amdhsa_ieee_mode 1
		.amdhsa_fp16_overflow 0
		.amdhsa_tg_split 0
		.amdhsa_exception_fp_ieee_invalid_op 0
		.amdhsa_exception_fp_denorm_src 0
		.amdhsa_exception_fp_ieee_div_zero 0
		.amdhsa_exception_fp_ieee_overflow 0
		.amdhsa_exception_fp_ieee_underflow 0
		.amdhsa_exception_fp_ieee_inexact 0
		.amdhsa_exception_int_div_zero 0
	.end_amdhsa_kernel
	.section	.text._ZN4vllm18convert_fp8_kernelIthLNS_18Fp8KVCacheDataTypeE0EEEvPKT0_PT_fl,"axG",@progbits,_ZN4vllm18convert_fp8_kernelIthLNS_18Fp8KVCacheDataTypeE0EEEvPKT0_PT_fl,comdat
.Lfunc_end31:
	.size	_ZN4vllm18convert_fp8_kernelIthLNS_18Fp8KVCacheDataTypeE0EEEvPKT0_PT_fl, .Lfunc_end31-_ZN4vllm18convert_fp8_kernelIthLNS_18Fp8KVCacheDataTypeE0EEEvPKT0_PT_fl
                                        ; -- End function
	.section	.AMDGPU.csdata,"",@progbits
; Kernel info:
; codeLenInByte = 160
; NumSgprs: 40
; NumVgprs: 53
; NumAgprs: 0
; TotalNumVgprs: 53
; ScratchSize: 64
; MemoryBound: 0
; FloatMode: 240
; IeeeMode: 1
; LDSByteSize: 0 bytes/workgroup (compile time only)
; SGPRBlocks: 4
; VGPRBlocks: 6
; NumSGPRsForWavesPerEU: 40
; NumVGPRsForWavesPerEU: 53
; AccumOffset: 56
; Occupancy: 8
; WaveLimiterHint : 1
; COMPUTE_PGM_RSRC2:SCRATCH_EN: 1
; COMPUTE_PGM_RSRC2:USER_SGPR: 2
; COMPUTE_PGM_RSRC2:TRAP_HANDLER: 0
; COMPUTE_PGM_RSRC2:TGID_X_EN: 1
; COMPUTE_PGM_RSRC2:TGID_Y_EN: 0
; COMPUTE_PGM_RSRC2:TGID_Z_EN: 0
; COMPUTE_PGM_RSRC2:TIDIG_COMP_CNT: 0
; COMPUTE_PGM_RSRC3_GFX90A:ACCUM_OFFSET: 13
; COMPUTE_PGM_RSRC3_GFX90A:TG_SPLIT: 0
	.section	.text._ZN4vllm18convert_fp8_kernelI14__hip_bfloat16hLNS_18Fp8KVCacheDataTypeE0EEEvPKT0_PT_fl,"axG",@progbits,_ZN4vllm18convert_fp8_kernelI14__hip_bfloat16hLNS_18Fp8KVCacheDataTypeE0EEEvPKT0_PT_fl,comdat
	.protected	_ZN4vllm18convert_fp8_kernelI14__hip_bfloat16hLNS_18Fp8KVCacheDataTypeE0EEEvPKT0_PT_fl ; -- Begin function _ZN4vllm18convert_fp8_kernelI14__hip_bfloat16hLNS_18Fp8KVCacheDataTypeE0EEEvPKT0_PT_fl
	.globl	_ZN4vllm18convert_fp8_kernelI14__hip_bfloat16hLNS_18Fp8KVCacheDataTypeE0EEEvPKT0_PT_fl
	.p2align	8
	.type	_ZN4vllm18convert_fp8_kernelI14__hip_bfloat16hLNS_18Fp8KVCacheDataTypeE0EEEvPKT0_PT_fl,@function
_ZN4vllm18convert_fp8_kernelI14__hip_bfloat16hLNS_18Fp8KVCacheDataTypeE0EEEvPKT0_PT_fl: ; @_ZN4vllm18convert_fp8_kernelI14__hip_bfloat16hLNS_18Fp8KVCacheDataTypeE0EEEvPKT0_PT_fl
; %bb.0:
	s_load_dwordx2 s[2:3], s[0:1], 0x18
	v_mov_b32_e32 v1, 0
	s_mov_b32 s32, 0
	s_waitcnt lgkmcnt(0)
	v_cmp_gt_i64_e32 vcc, s[2:3], v[0:1]
	s_and_saveexec_b64 s[2:3], vcc
	s_cbranch_execz .LBB32_2
; %bb.1:
	s_add_u32 s8, s0, 32
	s_addc_u32 s9, s1, 0
	s_getpc_b64 s[0:1]
	s_add_u32 s0, s0, .str@rel32@lo+4
	s_addc_u32 s1, s1, .str@rel32@hi+12
	s_getpc_b64 s[2:3]
	s_add_u32 s2, s2, .str.1@rel32@lo+4
	s_addc_u32 s3, s3, .str.1@rel32@hi+12
	s_getpc_b64 s[4:5]
	s_add_u32 s4, s4, __PRETTY_FUNCTION__._ZN4vllm3fp814scaled_convertI14__hip_bfloat16hLNS_18Fp8KVCacheDataTypeE0EEET_RKT0_f@rel32@lo+4
	s_addc_u32 s5, s5, __PRETTY_FUNCTION__._ZN4vllm3fp814scaled_convertI14__hip_bfloat16hLNS_18Fp8KVCacheDataTypeE0EEET_RKT0_f@rel32@hi+12
	v_mov_b32_e32 v0, s0
	v_mov_b32_e32 v1, s1
	;; [unrolled: 1-line block ×7, first 2 shown]
	s_getpc_b64 s[6:7]
	s_add_u32 s6, s6, __assert_fail@rel32@lo+4
	s_addc_u32 s7, s7, __assert_fail@rel32@hi+12
	s_swappc_b64 s[30:31], s[6:7]
	; divergent unreachable
.LBB32_2:
	s_endpgm
	.section	.rodata,"a",@progbits
	.p2align	6, 0x0
	.amdhsa_kernel _ZN4vllm18convert_fp8_kernelI14__hip_bfloat16hLNS_18Fp8KVCacheDataTypeE0EEEvPKT0_PT_fl
		.amdhsa_group_segment_fixed_size 0
		.amdhsa_private_segment_fixed_size 64
		.amdhsa_kernarg_size 288
		.amdhsa_user_sgpr_count 2
		.amdhsa_user_sgpr_dispatch_ptr 0
		.amdhsa_user_sgpr_queue_ptr 0
		.amdhsa_user_sgpr_kernarg_segment_ptr 1
		.amdhsa_user_sgpr_dispatch_id 0
		.amdhsa_user_sgpr_kernarg_preload_length 0
		.amdhsa_user_sgpr_kernarg_preload_offset 0
		.amdhsa_user_sgpr_private_segment_size 0
		.amdhsa_uses_dynamic_stack 0
		.amdhsa_enable_private_segment 1
		.amdhsa_system_sgpr_workgroup_id_x 1
		.amdhsa_system_sgpr_workgroup_id_y 0
		.amdhsa_system_sgpr_workgroup_id_z 0
		.amdhsa_system_sgpr_workgroup_info 0
		.amdhsa_system_vgpr_workitem_id 0
		.amdhsa_next_free_vgpr 53
		.amdhsa_next_free_sgpr 34
		.amdhsa_accum_offset 56
		.amdhsa_reserve_vcc 1
		.amdhsa_float_round_mode_32 0
		.amdhsa_float_round_mode_16_64 0
		.amdhsa_float_denorm_mode_32 3
		.amdhsa_float_denorm_mode_16_64 3
		.amdhsa_dx10_clamp 1
		.amdhsa_ieee_mode 1
		.amdhsa_fp16_overflow 0
		.amdhsa_tg_split 0
		.amdhsa_exception_fp_ieee_invalid_op 0
		.amdhsa_exception_fp_denorm_src 0
		.amdhsa_exception_fp_ieee_div_zero 0
		.amdhsa_exception_fp_ieee_overflow 0
		.amdhsa_exception_fp_ieee_underflow 0
		.amdhsa_exception_fp_ieee_inexact 0
		.amdhsa_exception_int_div_zero 0
	.end_amdhsa_kernel
	.section	.text._ZN4vllm18convert_fp8_kernelI14__hip_bfloat16hLNS_18Fp8KVCacheDataTypeE0EEEvPKT0_PT_fl,"axG",@progbits,_ZN4vllm18convert_fp8_kernelI14__hip_bfloat16hLNS_18Fp8KVCacheDataTypeE0EEEvPKT0_PT_fl,comdat
.Lfunc_end32:
	.size	_ZN4vllm18convert_fp8_kernelI14__hip_bfloat16hLNS_18Fp8KVCacheDataTypeE0EEEvPKT0_PT_fl, .Lfunc_end32-_ZN4vllm18convert_fp8_kernelI14__hip_bfloat16hLNS_18Fp8KVCacheDataTypeE0EEEvPKT0_PT_fl
                                        ; -- End function
	.section	.AMDGPU.csdata,"",@progbits
; Kernel info:
; codeLenInByte = 160
; NumSgprs: 40
; NumVgprs: 53
; NumAgprs: 0
; TotalNumVgprs: 53
; ScratchSize: 64
; MemoryBound: 0
; FloatMode: 240
; IeeeMode: 1
; LDSByteSize: 0 bytes/workgroup (compile time only)
; SGPRBlocks: 4
; VGPRBlocks: 6
; NumSGPRsForWavesPerEU: 40
; NumVGPRsForWavesPerEU: 53
; AccumOffset: 56
; Occupancy: 8
; WaveLimiterHint : 1
; COMPUTE_PGM_RSRC2:SCRATCH_EN: 1
; COMPUTE_PGM_RSRC2:USER_SGPR: 2
; COMPUTE_PGM_RSRC2:TRAP_HANDLER: 0
; COMPUTE_PGM_RSRC2:TGID_X_EN: 1
; COMPUTE_PGM_RSRC2:TGID_Y_EN: 0
; COMPUTE_PGM_RSRC2:TGID_Z_EN: 0
; COMPUTE_PGM_RSRC2:TIDIG_COMP_CNT: 0
; COMPUTE_PGM_RSRC3_GFX90A:ACCUM_OFFSET: 13
; COMPUTE_PGM_RSRC3_GFX90A:TG_SPLIT: 0
	.section	.text._ZN4vllm18convert_fp8_kernelIhfLNS_18Fp8KVCacheDataTypeE1EEEvPKT0_PT_fl,"axG",@progbits,_ZN4vllm18convert_fp8_kernelIhfLNS_18Fp8KVCacheDataTypeE1EEEvPKT0_PT_fl,comdat
	.protected	_ZN4vllm18convert_fp8_kernelIhfLNS_18Fp8KVCacheDataTypeE1EEEvPKT0_PT_fl ; -- Begin function _ZN4vllm18convert_fp8_kernelIhfLNS_18Fp8KVCacheDataTypeE1EEEvPKT0_PT_fl
	.globl	_ZN4vllm18convert_fp8_kernelIhfLNS_18Fp8KVCacheDataTypeE1EEEvPKT0_PT_fl
	.p2align	8
	.type	_ZN4vllm18convert_fp8_kernelIhfLNS_18Fp8KVCacheDataTypeE1EEEvPKT0_PT_fl,@function
_ZN4vllm18convert_fp8_kernelIhfLNS_18Fp8KVCacheDataTypeE1EEEvPKT0_PT_fl: ; @_ZN4vllm18convert_fp8_kernelIhfLNS_18Fp8KVCacheDataTypeE1EEEvPKT0_PT_fl
; %bb.0:
	s_load_dwordx2 s[8:9], s[0:1], 0x18
	v_mov_b32_e32 v1, 0
	s_waitcnt lgkmcnt(0)
	v_cmp_gt_i64_e32 vcc, s[8:9], v[0:1]
	s_and_saveexec_b64 s[4:5], vcc
	s_cbranch_execz .LBB33_3
; %bb.1:
	s_load_dwordx4 s[4:7], s[0:1], 0x0
	s_load_dword s10, s[0:1], 0x10
	s_load_dword s3, s[0:1], 0x2c
	s_mul_i32 s0, s2, s9
	s_mul_hi_u32 s1, s2, s8
	s_add_i32 s1, s1, s0
	s_mul_i32 s0, s2, s8
	s_waitcnt lgkmcnt(0)
	s_and_b32 s11, s3, 0xffff
	v_add_u32_e32 v2, s11, v0
	s_mov_b64 s[2:3], 0
	s_mov_b32 s12, 0x7f800000
	s_mov_b32 s13, 0x43700000
	v_mov_b32_e32 v4, 0xc3700000
.LBB33_2:                               ; =>This Inner Loop Header: Depth=1
	v_lshl_add_u64 v[0:1], v[0:1], 0, s[0:1]
	v_lshl_add_u64 v[6:7], v[0:1], 2, s[4:5]
	global_load_dword v5, v[6:7], off
	v_mov_b32_e32 v8, 0
	v_ashrrev_i32_e32 v3, 31, v2
	v_lshl_add_u64 v[6:7], s[6:7], 0, v[0:1]
	v_mov_b64_e32 v[0:1], v[2:3]
	s_waitcnt vmcnt(0)
	v_div_scale_f32 v9, s[14:15], s10, s10, v5
	v_rcp_f32_e32 v10, v9
	v_div_scale_f32 v11, vcc, v5, s10, v5
	v_fma_f32 v12, -v9, v10, 1.0
	v_fmac_f32_e32 v10, v12, v10
	v_mul_f32_e32 v12, v11, v10
	v_fma_f32 v13, -v9, v12, v11
	v_fmac_f32_e32 v12, v13, v10
	v_fma_f32 v9, -v9, v12, v11
	v_div_fmas_f32 v9, v9, v10, v12
	v_div_fixup_f32 v5, v9, s10, v5
	v_med3_f32 v9, v5, s13, v4
	v_cmp_nlg_f32_e64 vcc, |v5|, s12
	s_nop 1
	v_cndmask_b32_e32 v5, v9, v5, vcc
	v_cvt_pk_fp8_f32 v8, v5, v5
	v_cmp_le_i64_e32 vcc, s[8:9], v[2:3]
	v_add_u32_e32 v2, s11, v2
	s_or_b64 s[2:3], vcc, s[2:3]
	global_store_byte v[6:7], v8, off
	s_andn2_b64 exec, exec, s[2:3]
	s_cbranch_execnz .LBB33_2
.LBB33_3:
	s_endpgm
	.section	.rodata,"a",@progbits
	.p2align	6, 0x0
	.amdhsa_kernel _ZN4vllm18convert_fp8_kernelIhfLNS_18Fp8KVCacheDataTypeE1EEEvPKT0_PT_fl
		.amdhsa_group_segment_fixed_size 0
		.amdhsa_private_segment_fixed_size 0
		.amdhsa_kernarg_size 288
		.amdhsa_user_sgpr_count 2
		.amdhsa_user_sgpr_dispatch_ptr 0
		.amdhsa_user_sgpr_queue_ptr 0
		.amdhsa_user_sgpr_kernarg_segment_ptr 1
		.amdhsa_user_sgpr_dispatch_id 0
		.amdhsa_user_sgpr_kernarg_preload_length 0
		.amdhsa_user_sgpr_kernarg_preload_offset 0
		.amdhsa_user_sgpr_private_segment_size 0
		.amdhsa_uses_dynamic_stack 0
		.amdhsa_enable_private_segment 0
		.amdhsa_system_sgpr_workgroup_id_x 1
		.amdhsa_system_sgpr_workgroup_id_y 0
		.amdhsa_system_sgpr_workgroup_id_z 0
		.amdhsa_system_sgpr_workgroup_info 0
		.amdhsa_system_vgpr_workitem_id 0
		.amdhsa_next_free_vgpr 14
		.amdhsa_next_free_sgpr 16
		.amdhsa_accum_offset 16
		.amdhsa_reserve_vcc 1
		.amdhsa_float_round_mode_32 0
		.amdhsa_float_round_mode_16_64 0
		.amdhsa_float_denorm_mode_32 3
		.amdhsa_float_denorm_mode_16_64 3
		.amdhsa_dx10_clamp 1
		.amdhsa_ieee_mode 1
		.amdhsa_fp16_overflow 0
		.amdhsa_tg_split 0
		.amdhsa_exception_fp_ieee_invalid_op 0
		.amdhsa_exception_fp_denorm_src 0
		.amdhsa_exception_fp_ieee_div_zero 0
		.amdhsa_exception_fp_ieee_overflow 0
		.amdhsa_exception_fp_ieee_underflow 0
		.amdhsa_exception_fp_ieee_inexact 0
		.amdhsa_exception_int_div_zero 0
	.end_amdhsa_kernel
	.section	.text._ZN4vllm18convert_fp8_kernelIhfLNS_18Fp8KVCacheDataTypeE1EEEvPKT0_PT_fl,"axG",@progbits,_ZN4vllm18convert_fp8_kernelIhfLNS_18Fp8KVCacheDataTypeE1EEEvPKT0_PT_fl,comdat
.Lfunc_end33:
	.size	_ZN4vllm18convert_fp8_kernelIhfLNS_18Fp8KVCacheDataTypeE1EEEvPKT0_PT_fl, .Lfunc_end33-_ZN4vllm18convert_fp8_kernelIhfLNS_18Fp8KVCacheDataTypeE1EEEvPKT0_PT_fl
                                        ; -- End function
	.section	.AMDGPU.csdata,"",@progbits
; Kernel info:
; codeLenInByte = 296
; NumSgprs: 22
; NumVgprs: 14
; NumAgprs: 0
; TotalNumVgprs: 14
; ScratchSize: 0
; MemoryBound: 0
; FloatMode: 240
; IeeeMode: 1
; LDSByteSize: 0 bytes/workgroup (compile time only)
; SGPRBlocks: 2
; VGPRBlocks: 1
; NumSGPRsForWavesPerEU: 22
; NumVGPRsForWavesPerEU: 14
; AccumOffset: 16
; Occupancy: 8
; WaveLimiterHint : 0
; COMPUTE_PGM_RSRC2:SCRATCH_EN: 0
; COMPUTE_PGM_RSRC2:USER_SGPR: 2
; COMPUTE_PGM_RSRC2:TRAP_HANDLER: 0
; COMPUTE_PGM_RSRC2:TGID_X_EN: 1
; COMPUTE_PGM_RSRC2:TGID_Y_EN: 0
; COMPUTE_PGM_RSRC2:TGID_Z_EN: 0
; COMPUTE_PGM_RSRC2:TIDIG_COMP_CNT: 0
; COMPUTE_PGM_RSRC3_GFX90A:ACCUM_OFFSET: 3
; COMPUTE_PGM_RSRC3_GFX90A:TG_SPLIT: 0
	.section	.text._ZN4vllm18convert_fp8_kernelIhtLNS_18Fp8KVCacheDataTypeE1EEEvPKT0_PT_fl,"axG",@progbits,_ZN4vllm18convert_fp8_kernelIhtLNS_18Fp8KVCacheDataTypeE1EEEvPKT0_PT_fl,comdat
	.protected	_ZN4vllm18convert_fp8_kernelIhtLNS_18Fp8KVCacheDataTypeE1EEEvPKT0_PT_fl ; -- Begin function _ZN4vllm18convert_fp8_kernelIhtLNS_18Fp8KVCacheDataTypeE1EEEvPKT0_PT_fl
	.globl	_ZN4vllm18convert_fp8_kernelIhtLNS_18Fp8KVCacheDataTypeE1EEEvPKT0_PT_fl
	.p2align	8
	.type	_ZN4vllm18convert_fp8_kernelIhtLNS_18Fp8KVCacheDataTypeE1EEEvPKT0_PT_fl,@function
_ZN4vllm18convert_fp8_kernelIhtLNS_18Fp8KVCacheDataTypeE1EEEvPKT0_PT_fl: ; @_ZN4vllm18convert_fp8_kernelIhtLNS_18Fp8KVCacheDataTypeE1EEEvPKT0_PT_fl
; %bb.0:
	s_load_dwordx2 s[8:9], s[0:1], 0x18
	v_mov_b32_e32 v1, 0
	s_waitcnt lgkmcnt(0)
	v_cmp_gt_i64_e32 vcc, s[8:9], v[0:1]
	s_and_saveexec_b64 s[4:5], vcc
	s_cbranch_execz .LBB34_3
; %bb.1:
	s_load_dwordx4 s[4:7], s[0:1], 0x0
	s_load_dword s10, s[0:1], 0x10
	s_load_dword s3, s[0:1], 0x2c
	s_mul_i32 s0, s2, s9
	s_mul_hi_u32 s1, s2, s8
	s_add_i32 s1, s1, s0
	s_mul_i32 s0, s2, s8
	s_waitcnt lgkmcnt(0)
	s_and_b32 s11, s3, 0xffff
	v_add_u32_e32 v2, s11, v0
	s_mov_b64 s[2:3], 0
	s_mov_b32 s12, 0x7f800000
	s_mov_b32 s13, 0x43700000
	v_mov_b32_e32 v4, 0xc3700000
.LBB34_2:                               ; =>This Inner Loop Header: Depth=1
	v_lshl_add_u64 v[0:1], v[0:1], 0, s[0:1]
	v_lshl_add_u64 v[6:7], v[0:1], 1, s[4:5]
	global_load_ushort v3, v[6:7], off
	s_waitcnt vmcnt(0)
	v_cvt_f32_f16_e32 v3, v3
	v_div_scale_f32 v5, s[14:15], s10, s10, v3
	v_rcp_f32_e32 v6, v5
	v_div_scale_f32 v7, vcc, v3, s10, v3
	v_fma_f32 v8, -v5, v6, 1.0
	v_fmac_f32_e32 v6, v8, v6
	v_mul_f32_e32 v8, v7, v6
	v_fma_f32 v9, -v5, v8, v7
	v_fmac_f32_e32 v8, v9, v6
	v_fma_f32 v5, -v5, v8, v7
	v_div_fmas_f32 v5, v5, v6, v8
	v_div_fixup_f32 v3, v5, s10, v3
	v_cvt_f16_f32_e32 v5, v3
	v_mov_b32_e32 v8, 0
	v_ashrrev_i32_e32 v3, 31, v2
	v_lshl_add_u64 v[6:7], s[6:7], 0, v[0:1]
	v_cvt_f32_f16_e32 v5, v5
	v_mov_b64_e32 v[0:1], v[2:3]
	v_med3_f32 v9, v5, s13, v4
	v_cmp_nlg_f32_e64 vcc, |v5|, s12
	s_nop 1
	v_cndmask_b32_e32 v5, v9, v5, vcc
	v_cvt_pk_fp8_f32 v8, v5, v5
	v_cmp_le_i64_e32 vcc, s[8:9], v[2:3]
	v_add_u32_e32 v2, s11, v2
	s_or_b64 s[2:3], vcc, s[2:3]
	global_store_byte v[6:7], v8, off
	s_andn2_b64 exec, exec, s[2:3]
	s_cbranch_execnz .LBB34_2
.LBB34_3:
	s_endpgm
	.section	.rodata,"a",@progbits
	.p2align	6, 0x0
	.amdhsa_kernel _ZN4vllm18convert_fp8_kernelIhtLNS_18Fp8KVCacheDataTypeE1EEEvPKT0_PT_fl
		.amdhsa_group_segment_fixed_size 0
		.amdhsa_private_segment_fixed_size 0
		.amdhsa_kernarg_size 288
		.amdhsa_user_sgpr_count 2
		.amdhsa_user_sgpr_dispatch_ptr 0
		.amdhsa_user_sgpr_queue_ptr 0
		.amdhsa_user_sgpr_kernarg_segment_ptr 1
		.amdhsa_user_sgpr_dispatch_id 0
		.amdhsa_user_sgpr_kernarg_preload_length 0
		.amdhsa_user_sgpr_kernarg_preload_offset 0
		.amdhsa_user_sgpr_private_segment_size 0
		.amdhsa_uses_dynamic_stack 0
		.amdhsa_enable_private_segment 0
		.amdhsa_system_sgpr_workgroup_id_x 1
		.amdhsa_system_sgpr_workgroup_id_y 0
		.amdhsa_system_sgpr_workgroup_id_z 0
		.amdhsa_system_sgpr_workgroup_info 0
		.amdhsa_system_vgpr_workitem_id 0
		.amdhsa_next_free_vgpr 10
		.amdhsa_next_free_sgpr 16
		.amdhsa_accum_offset 12
		.amdhsa_reserve_vcc 1
		.amdhsa_float_round_mode_32 0
		.amdhsa_float_round_mode_16_64 0
		.amdhsa_float_denorm_mode_32 3
		.amdhsa_float_denorm_mode_16_64 3
		.amdhsa_dx10_clamp 1
		.amdhsa_ieee_mode 1
		.amdhsa_fp16_overflow 0
		.amdhsa_tg_split 0
		.amdhsa_exception_fp_ieee_invalid_op 0
		.amdhsa_exception_fp_denorm_src 0
		.amdhsa_exception_fp_ieee_div_zero 0
		.amdhsa_exception_fp_ieee_overflow 0
		.amdhsa_exception_fp_ieee_underflow 0
		.amdhsa_exception_fp_ieee_inexact 0
		.amdhsa_exception_int_div_zero 0
	.end_amdhsa_kernel
	.section	.text._ZN4vllm18convert_fp8_kernelIhtLNS_18Fp8KVCacheDataTypeE1EEEvPKT0_PT_fl,"axG",@progbits,_ZN4vllm18convert_fp8_kernelIhtLNS_18Fp8KVCacheDataTypeE1EEEvPKT0_PT_fl,comdat
.Lfunc_end34:
	.size	_ZN4vllm18convert_fp8_kernelIhtLNS_18Fp8KVCacheDataTypeE1EEEvPKT0_PT_fl, .Lfunc_end34-_ZN4vllm18convert_fp8_kernelIhtLNS_18Fp8KVCacheDataTypeE1EEEvPKT0_PT_fl
                                        ; -- End function
	.section	.AMDGPU.csdata,"",@progbits
; Kernel info:
; codeLenInByte = 308
; NumSgprs: 22
; NumVgprs: 10
; NumAgprs: 0
; TotalNumVgprs: 10
; ScratchSize: 0
; MemoryBound: 0
; FloatMode: 240
; IeeeMode: 1
; LDSByteSize: 0 bytes/workgroup (compile time only)
; SGPRBlocks: 2
; VGPRBlocks: 1
; NumSGPRsForWavesPerEU: 22
; NumVGPRsForWavesPerEU: 10
; AccumOffset: 12
; Occupancy: 8
; WaveLimiterHint : 0
; COMPUTE_PGM_RSRC2:SCRATCH_EN: 0
; COMPUTE_PGM_RSRC2:USER_SGPR: 2
; COMPUTE_PGM_RSRC2:TRAP_HANDLER: 0
; COMPUTE_PGM_RSRC2:TGID_X_EN: 1
; COMPUTE_PGM_RSRC2:TGID_Y_EN: 0
; COMPUTE_PGM_RSRC2:TGID_Z_EN: 0
; COMPUTE_PGM_RSRC2:TIDIG_COMP_CNT: 0
; COMPUTE_PGM_RSRC3_GFX90A:ACCUM_OFFSET: 2
; COMPUTE_PGM_RSRC3_GFX90A:TG_SPLIT: 0
	.section	.text._ZN4vllm18convert_fp8_kernelIh14__hip_bfloat16LNS_18Fp8KVCacheDataTypeE1EEEvPKT0_PT_fl,"axG",@progbits,_ZN4vllm18convert_fp8_kernelIh14__hip_bfloat16LNS_18Fp8KVCacheDataTypeE1EEEvPKT0_PT_fl,comdat
	.protected	_ZN4vllm18convert_fp8_kernelIh14__hip_bfloat16LNS_18Fp8KVCacheDataTypeE1EEEvPKT0_PT_fl ; -- Begin function _ZN4vllm18convert_fp8_kernelIh14__hip_bfloat16LNS_18Fp8KVCacheDataTypeE1EEEvPKT0_PT_fl
	.globl	_ZN4vllm18convert_fp8_kernelIh14__hip_bfloat16LNS_18Fp8KVCacheDataTypeE1EEEvPKT0_PT_fl
	.p2align	8
	.type	_ZN4vllm18convert_fp8_kernelIh14__hip_bfloat16LNS_18Fp8KVCacheDataTypeE1EEEvPKT0_PT_fl,@function
_ZN4vllm18convert_fp8_kernelIh14__hip_bfloat16LNS_18Fp8KVCacheDataTypeE1EEEvPKT0_PT_fl: ; @_ZN4vllm18convert_fp8_kernelIh14__hip_bfloat16LNS_18Fp8KVCacheDataTypeE1EEEvPKT0_PT_fl
; %bb.0:
	s_load_dwordx2 s[8:9], s[0:1], 0x18
	v_mov_b32_e32 v1, 0
	s_waitcnt lgkmcnt(0)
	v_cmp_gt_i64_e32 vcc, s[8:9], v[0:1]
	s_and_saveexec_b64 s[4:5], vcc
	s_cbranch_execz .LBB35_3
; %bb.1:
	s_load_dwordx4 s[4:7], s[0:1], 0x0
	s_load_dword s10, s[0:1], 0x10
	s_load_dword s3, s[0:1], 0x2c
	s_mul_i32 s0, s2, s9
	s_mul_hi_u32 s1, s2, s8
	s_add_i32 s1, s1, s0
	s_mul_i32 s0, s2, s8
	s_waitcnt lgkmcnt(0)
	s_and_b32 s11, s3, 0xffff
	v_add_u32_e32 v2, s11, v0
	s_mov_b64 s[2:3], 0
	s_mov_b32 s12, 0x7f800000
	s_mov_b32 s13, 0x43700000
	v_mov_b32_e32 v4, 0xc3700000
.LBB35_2:                               ; =>This Inner Loop Header: Depth=1
	v_lshl_add_u64 v[0:1], v[0:1], 0, s[0:1]
	v_lshl_add_u64 v[6:7], v[0:1], 1, s[4:5]
	global_load_ushort v5, v[6:7], off
	v_mov_b32_e32 v8, 0
	v_ashrrev_i32_e32 v3, 31, v2
	v_lshl_add_u64 v[6:7], s[6:7], 0, v[0:1]
	v_mov_b64_e32 v[0:1], v[2:3]
	s_waitcnt vmcnt(0)
	v_lshlrev_b32_e32 v5, 16, v5
	v_div_scale_f32 v9, s[14:15], s10, s10, v5
	v_rcp_f32_e32 v10, v9
	v_div_scale_f32 v11, vcc, v5, s10, v5
	v_fma_f32 v12, -v9, v10, 1.0
	v_fmac_f32_e32 v10, v12, v10
	v_mul_f32_e32 v12, v11, v10
	v_fma_f32 v13, -v9, v12, v11
	v_fmac_f32_e32 v12, v13, v10
	v_fma_f32 v9, -v9, v12, v11
	v_div_fmas_f32 v9, v9, v10, v12
	v_div_fixup_f32 v5, v9, s10, v5
	v_med3_f32 v9, v5, s13, v4
	v_cmp_nlg_f32_e64 vcc, |v5|, s12
	s_nop 1
	v_cndmask_b32_e32 v5, v9, v5, vcc
	v_cvt_pk_fp8_f32 v8, v5, v5
	v_cmp_le_i64_e32 vcc, s[8:9], v[2:3]
	v_add_u32_e32 v2, s11, v2
	s_or_b64 s[2:3], vcc, s[2:3]
	global_store_byte v[6:7], v8, off
	s_andn2_b64 exec, exec, s[2:3]
	s_cbranch_execnz .LBB35_2
.LBB35_3:
	s_endpgm
	.section	.rodata,"a",@progbits
	.p2align	6, 0x0
	.amdhsa_kernel _ZN4vllm18convert_fp8_kernelIh14__hip_bfloat16LNS_18Fp8KVCacheDataTypeE1EEEvPKT0_PT_fl
		.amdhsa_group_segment_fixed_size 0
		.amdhsa_private_segment_fixed_size 0
		.amdhsa_kernarg_size 288
		.amdhsa_user_sgpr_count 2
		.amdhsa_user_sgpr_dispatch_ptr 0
		.amdhsa_user_sgpr_queue_ptr 0
		.amdhsa_user_sgpr_kernarg_segment_ptr 1
		.amdhsa_user_sgpr_dispatch_id 0
		.amdhsa_user_sgpr_kernarg_preload_length 0
		.amdhsa_user_sgpr_kernarg_preload_offset 0
		.amdhsa_user_sgpr_private_segment_size 0
		.amdhsa_uses_dynamic_stack 0
		.amdhsa_enable_private_segment 0
		.amdhsa_system_sgpr_workgroup_id_x 1
		.amdhsa_system_sgpr_workgroup_id_y 0
		.amdhsa_system_sgpr_workgroup_id_z 0
		.amdhsa_system_sgpr_workgroup_info 0
		.amdhsa_system_vgpr_workitem_id 0
		.amdhsa_next_free_vgpr 14
		.amdhsa_next_free_sgpr 16
		.amdhsa_accum_offset 16
		.amdhsa_reserve_vcc 1
		.amdhsa_float_round_mode_32 0
		.amdhsa_float_round_mode_16_64 0
		.amdhsa_float_denorm_mode_32 3
		.amdhsa_float_denorm_mode_16_64 3
		.amdhsa_dx10_clamp 1
		.amdhsa_ieee_mode 1
		.amdhsa_fp16_overflow 0
		.amdhsa_tg_split 0
		.amdhsa_exception_fp_ieee_invalid_op 0
		.amdhsa_exception_fp_denorm_src 0
		.amdhsa_exception_fp_ieee_div_zero 0
		.amdhsa_exception_fp_ieee_overflow 0
		.amdhsa_exception_fp_ieee_underflow 0
		.amdhsa_exception_fp_ieee_inexact 0
		.amdhsa_exception_int_div_zero 0
	.end_amdhsa_kernel
	.section	.text._ZN4vllm18convert_fp8_kernelIh14__hip_bfloat16LNS_18Fp8KVCacheDataTypeE1EEEvPKT0_PT_fl,"axG",@progbits,_ZN4vllm18convert_fp8_kernelIh14__hip_bfloat16LNS_18Fp8KVCacheDataTypeE1EEEvPKT0_PT_fl,comdat
.Lfunc_end35:
	.size	_ZN4vllm18convert_fp8_kernelIh14__hip_bfloat16LNS_18Fp8KVCacheDataTypeE1EEEvPKT0_PT_fl, .Lfunc_end35-_ZN4vllm18convert_fp8_kernelIh14__hip_bfloat16LNS_18Fp8KVCacheDataTypeE1EEEvPKT0_PT_fl
                                        ; -- End function
	.section	.AMDGPU.csdata,"",@progbits
; Kernel info:
; codeLenInByte = 300
; NumSgprs: 22
; NumVgprs: 14
; NumAgprs: 0
; TotalNumVgprs: 14
; ScratchSize: 0
; MemoryBound: 0
; FloatMode: 240
; IeeeMode: 1
; LDSByteSize: 0 bytes/workgroup (compile time only)
; SGPRBlocks: 2
; VGPRBlocks: 1
; NumSGPRsForWavesPerEU: 22
; NumVGPRsForWavesPerEU: 14
; AccumOffset: 16
; Occupancy: 8
; WaveLimiterHint : 0
; COMPUTE_PGM_RSRC2:SCRATCH_EN: 0
; COMPUTE_PGM_RSRC2:USER_SGPR: 2
; COMPUTE_PGM_RSRC2:TRAP_HANDLER: 0
; COMPUTE_PGM_RSRC2:TGID_X_EN: 1
; COMPUTE_PGM_RSRC2:TGID_Y_EN: 0
; COMPUTE_PGM_RSRC2:TGID_Z_EN: 0
; COMPUTE_PGM_RSRC2:TIDIG_COMP_CNT: 0
; COMPUTE_PGM_RSRC3_GFX90A:ACCUM_OFFSET: 3
; COMPUTE_PGM_RSRC3_GFX90A:TG_SPLIT: 0
	.section	.text._ZN4vllm18convert_fp8_kernelIfhLNS_18Fp8KVCacheDataTypeE1EEEvPKT0_PT_fl,"axG",@progbits,_ZN4vllm18convert_fp8_kernelIfhLNS_18Fp8KVCacheDataTypeE1EEEvPKT0_PT_fl,comdat
	.protected	_ZN4vllm18convert_fp8_kernelIfhLNS_18Fp8KVCacheDataTypeE1EEEvPKT0_PT_fl ; -- Begin function _ZN4vllm18convert_fp8_kernelIfhLNS_18Fp8KVCacheDataTypeE1EEEvPKT0_PT_fl
	.globl	_ZN4vllm18convert_fp8_kernelIfhLNS_18Fp8KVCacheDataTypeE1EEEvPKT0_PT_fl
	.p2align	8
	.type	_ZN4vllm18convert_fp8_kernelIfhLNS_18Fp8KVCacheDataTypeE1EEEvPKT0_PT_fl,@function
_ZN4vllm18convert_fp8_kernelIfhLNS_18Fp8KVCacheDataTypeE1EEEvPKT0_PT_fl: ; @_ZN4vllm18convert_fp8_kernelIfhLNS_18Fp8KVCacheDataTypeE1EEEvPKT0_PT_fl
; %bb.0:
	s_load_dwordx2 s[8:9], s[0:1], 0x18
	v_mov_b32_e32 v1, 0
	s_waitcnt lgkmcnt(0)
	v_cmp_gt_i64_e32 vcc, s[8:9], v[0:1]
	s_and_saveexec_b64 s[4:5], vcc
	s_cbranch_execz .LBB36_3
; %bb.1:
	s_load_dwordx4 s[4:7], s[0:1], 0x0
	s_load_dword s10, s[0:1], 0x10
	s_load_dword s3, s[0:1], 0x2c
	s_mul_i32 s0, s2, s9
	s_mul_hi_u32 s1, s2, s8
	s_add_i32 s1, s1, s0
	s_mul_i32 s0, s2, s8
	s_waitcnt lgkmcnt(0)
	s_and_b32 s11, s3, 0xffff
	v_add_u32_e32 v2, s11, v0
	s_mov_b64 s[2:3], 0
.LBB36_2:                               ; =>This Inner Loop Header: Depth=1
	v_lshl_add_u64 v[0:1], v[0:1], 0, s[0:1]
	v_lshl_add_u64 v[4:5], s[4:5], 0, v[0:1]
	global_load_ubyte v6, v[4:5], off
	v_ashrrev_i32_e32 v3, 31, v2
	v_cmp_le_i64_e32 vcc, s[8:9], v[2:3]
	v_lshl_add_u64 v[4:5], v[0:1], 2, s[6:7]
	v_mov_b64_e32 v[0:1], v[2:3]
	v_add_u32_e32 v2, s11, v2
	s_or_b64 s[2:3], vcc, s[2:3]
	s_waitcnt vmcnt(0)
	v_cvt_f32_fp8_sdwa v6, v6 src0_sel:BYTE_0
	s_nop 0
	v_mul_f32_e32 v3, s10, v6
	global_store_dword v[4:5], v3, off
	s_andn2_b64 exec, exec, s[2:3]
	s_cbranch_execnz .LBB36_2
.LBB36_3:
	s_endpgm
	.section	.rodata,"a",@progbits
	.p2align	6, 0x0
	.amdhsa_kernel _ZN4vllm18convert_fp8_kernelIfhLNS_18Fp8KVCacheDataTypeE1EEEvPKT0_PT_fl
		.amdhsa_group_segment_fixed_size 0
		.amdhsa_private_segment_fixed_size 0
		.amdhsa_kernarg_size 288
		.amdhsa_user_sgpr_count 2
		.amdhsa_user_sgpr_dispatch_ptr 0
		.amdhsa_user_sgpr_queue_ptr 0
		.amdhsa_user_sgpr_kernarg_segment_ptr 1
		.amdhsa_user_sgpr_dispatch_id 0
		.amdhsa_user_sgpr_kernarg_preload_length 0
		.amdhsa_user_sgpr_kernarg_preload_offset 0
		.amdhsa_user_sgpr_private_segment_size 0
		.amdhsa_uses_dynamic_stack 0
		.amdhsa_enable_private_segment 0
		.amdhsa_system_sgpr_workgroup_id_x 1
		.amdhsa_system_sgpr_workgroup_id_y 0
		.amdhsa_system_sgpr_workgroup_id_z 0
		.amdhsa_system_sgpr_workgroup_info 0
		.amdhsa_system_vgpr_workitem_id 0
		.amdhsa_next_free_vgpr 7
		.amdhsa_next_free_sgpr 12
		.amdhsa_accum_offset 8
		.amdhsa_reserve_vcc 1
		.amdhsa_float_round_mode_32 0
		.amdhsa_float_round_mode_16_64 0
		.amdhsa_float_denorm_mode_32 3
		.amdhsa_float_denorm_mode_16_64 3
		.amdhsa_dx10_clamp 1
		.amdhsa_ieee_mode 1
		.amdhsa_fp16_overflow 0
		.amdhsa_tg_split 0
		.amdhsa_exception_fp_ieee_invalid_op 0
		.amdhsa_exception_fp_denorm_src 0
		.amdhsa_exception_fp_ieee_div_zero 0
		.amdhsa_exception_fp_ieee_overflow 0
		.amdhsa_exception_fp_ieee_underflow 0
		.amdhsa_exception_fp_ieee_inexact 0
		.amdhsa_exception_int_div_zero 0
	.end_amdhsa_kernel
	.section	.text._ZN4vllm18convert_fp8_kernelIfhLNS_18Fp8KVCacheDataTypeE1EEEvPKT0_PT_fl,"axG",@progbits,_ZN4vllm18convert_fp8_kernelIfhLNS_18Fp8KVCacheDataTypeE1EEEvPKT0_PT_fl,comdat
.Lfunc_end36:
	.size	_ZN4vllm18convert_fp8_kernelIfhLNS_18Fp8KVCacheDataTypeE1EEEvPKT0_PT_fl, .Lfunc_end36-_ZN4vllm18convert_fp8_kernelIfhLNS_18Fp8KVCacheDataTypeE1EEEvPKT0_PT_fl
                                        ; -- End function
	.section	.AMDGPU.csdata,"",@progbits
; Kernel info:
; codeLenInByte = 180
; NumSgprs: 18
; NumVgprs: 7
; NumAgprs: 0
; TotalNumVgprs: 7
; ScratchSize: 0
; MemoryBound: 0
; FloatMode: 240
; IeeeMode: 1
; LDSByteSize: 0 bytes/workgroup (compile time only)
; SGPRBlocks: 2
; VGPRBlocks: 0
; NumSGPRsForWavesPerEU: 18
; NumVGPRsForWavesPerEU: 7
; AccumOffset: 8
; Occupancy: 8
; WaveLimiterHint : 0
; COMPUTE_PGM_RSRC2:SCRATCH_EN: 0
; COMPUTE_PGM_RSRC2:USER_SGPR: 2
; COMPUTE_PGM_RSRC2:TRAP_HANDLER: 0
; COMPUTE_PGM_RSRC2:TGID_X_EN: 1
; COMPUTE_PGM_RSRC2:TGID_Y_EN: 0
; COMPUTE_PGM_RSRC2:TGID_Z_EN: 0
; COMPUTE_PGM_RSRC2:TIDIG_COMP_CNT: 0
; COMPUTE_PGM_RSRC3_GFX90A:ACCUM_OFFSET: 1
; COMPUTE_PGM_RSRC3_GFX90A:TG_SPLIT: 0
	.section	.text._ZN4vllm18convert_fp8_kernelIthLNS_18Fp8KVCacheDataTypeE1EEEvPKT0_PT_fl,"axG",@progbits,_ZN4vllm18convert_fp8_kernelIthLNS_18Fp8KVCacheDataTypeE1EEEvPKT0_PT_fl,comdat
	.protected	_ZN4vllm18convert_fp8_kernelIthLNS_18Fp8KVCacheDataTypeE1EEEvPKT0_PT_fl ; -- Begin function _ZN4vllm18convert_fp8_kernelIthLNS_18Fp8KVCacheDataTypeE1EEEvPKT0_PT_fl
	.globl	_ZN4vllm18convert_fp8_kernelIthLNS_18Fp8KVCacheDataTypeE1EEEvPKT0_PT_fl
	.p2align	8
	.type	_ZN4vllm18convert_fp8_kernelIthLNS_18Fp8KVCacheDataTypeE1EEEvPKT0_PT_fl,@function
_ZN4vllm18convert_fp8_kernelIthLNS_18Fp8KVCacheDataTypeE1EEEvPKT0_PT_fl: ; @_ZN4vllm18convert_fp8_kernelIthLNS_18Fp8KVCacheDataTypeE1EEEvPKT0_PT_fl
; %bb.0:
	s_load_dwordx2 s[8:9], s[0:1], 0x18
	v_mov_b32_e32 v1, 0
	s_waitcnt lgkmcnt(0)
	v_cmp_gt_i64_e32 vcc, s[8:9], v[0:1]
	s_and_saveexec_b64 s[4:5], vcc
	s_cbranch_execz .LBB37_3
; %bb.1:
	s_load_dwordx4 s[4:7], s[0:1], 0x0
	s_load_dword s10, s[0:1], 0x10
	s_load_dword s3, s[0:1], 0x2c
	s_mul_i32 s0, s2, s9
	s_mul_hi_u32 s1, s2, s8
	s_add_i32 s1, s1, s0
	s_mul_i32 s0, s2, s8
	s_waitcnt lgkmcnt(0)
	s_and_b32 s11, s3, 0xffff
	v_add_u32_e32 v2, s11, v0
	s_mov_b64 s[2:3], 0
.LBB37_2:                               ; =>This Inner Loop Header: Depth=1
	v_lshl_add_u64 v[0:1], v[0:1], 0, s[0:1]
	v_lshl_add_u64 v[4:5], s[4:5], 0, v[0:1]
	global_load_ubyte v6, v[4:5], off
	v_ashrrev_i32_e32 v3, 31, v2
	v_cmp_le_i64_e32 vcc, s[8:9], v[2:3]
	v_lshl_add_u64 v[4:5], v[0:1], 1, s[6:7]
	v_mov_b64_e32 v[0:1], v[2:3]
	v_add_u32_e32 v2, s11, v2
	s_or_b64 s[2:3], vcc, s[2:3]
	s_waitcnt vmcnt(0)
	v_cvt_f32_fp8_sdwa v6, v6 src0_sel:BYTE_0
	s_nop 0
	v_fma_mixlo_f16 v3, v6, s10, 0
	global_store_short v[4:5], v3, off
	s_andn2_b64 exec, exec, s[2:3]
	s_cbranch_execnz .LBB37_2
.LBB37_3:
	s_endpgm
	.section	.rodata,"a",@progbits
	.p2align	6, 0x0
	.amdhsa_kernel _ZN4vllm18convert_fp8_kernelIthLNS_18Fp8KVCacheDataTypeE1EEEvPKT0_PT_fl
		.amdhsa_group_segment_fixed_size 0
		.amdhsa_private_segment_fixed_size 0
		.amdhsa_kernarg_size 288
		.amdhsa_user_sgpr_count 2
		.amdhsa_user_sgpr_dispatch_ptr 0
		.amdhsa_user_sgpr_queue_ptr 0
		.amdhsa_user_sgpr_kernarg_segment_ptr 1
		.amdhsa_user_sgpr_dispatch_id 0
		.amdhsa_user_sgpr_kernarg_preload_length 0
		.amdhsa_user_sgpr_kernarg_preload_offset 0
		.amdhsa_user_sgpr_private_segment_size 0
		.amdhsa_uses_dynamic_stack 0
		.amdhsa_enable_private_segment 0
		.amdhsa_system_sgpr_workgroup_id_x 1
		.amdhsa_system_sgpr_workgroup_id_y 0
		.amdhsa_system_sgpr_workgroup_id_z 0
		.amdhsa_system_sgpr_workgroup_info 0
		.amdhsa_system_vgpr_workitem_id 0
		.amdhsa_next_free_vgpr 7
		.amdhsa_next_free_sgpr 12
		.amdhsa_accum_offset 8
		.amdhsa_reserve_vcc 1
		.amdhsa_float_round_mode_32 0
		.amdhsa_float_round_mode_16_64 0
		.amdhsa_float_denorm_mode_32 3
		.amdhsa_float_denorm_mode_16_64 3
		.amdhsa_dx10_clamp 1
		.amdhsa_ieee_mode 1
		.amdhsa_fp16_overflow 0
		.amdhsa_tg_split 0
		.amdhsa_exception_fp_ieee_invalid_op 0
		.amdhsa_exception_fp_denorm_src 0
		.amdhsa_exception_fp_ieee_div_zero 0
		.amdhsa_exception_fp_ieee_overflow 0
		.amdhsa_exception_fp_ieee_underflow 0
		.amdhsa_exception_fp_ieee_inexact 0
		.amdhsa_exception_int_div_zero 0
	.end_amdhsa_kernel
	.section	.text._ZN4vllm18convert_fp8_kernelIthLNS_18Fp8KVCacheDataTypeE1EEEvPKT0_PT_fl,"axG",@progbits,_ZN4vllm18convert_fp8_kernelIthLNS_18Fp8KVCacheDataTypeE1EEEvPKT0_PT_fl,comdat
.Lfunc_end37:
	.size	_ZN4vllm18convert_fp8_kernelIthLNS_18Fp8KVCacheDataTypeE1EEEvPKT0_PT_fl, .Lfunc_end37-_ZN4vllm18convert_fp8_kernelIthLNS_18Fp8KVCacheDataTypeE1EEEvPKT0_PT_fl
                                        ; -- End function
	.section	.AMDGPU.csdata,"",@progbits
; Kernel info:
; codeLenInByte = 184
; NumSgprs: 18
; NumVgprs: 7
; NumAgprs: 0
; TotalNumVgprs: 7
; ScratchSize: 0
; MemoryBound: 0
; FloatMode: 240
; IeeeMode: 1
; LDSByteSize: 0 bytes/workgroup (compile time only)
; SGPRBlocks: 2
; VGPRBlocks: 0
; NumSGPRsForWavesPerEU: 18
; NumVGPRsForWavesPerEU: 7
; AccumOffset: 8
; Occupancy: 8
; WaveLimiterHint : 0
; COMPUTE_PGM_RSRC2:SCRATCH_EN: 0
; COMPUTE_PGM_RSRC2:USER_SGPR: 2
; COMPUTE_PGM_RSRC2:TRAP_HANDLER: 0
; COMPUTE_PGM_RSRC2:TGID_X_EN: 1
; COMPUTE_PGM_RSRC2:TGID_Y_EN: 0
; COMPUTE_PGM_RSRC2:TGID_Z_EN: 0
; COMPUTE_PGM_RSRC2:TIDIG_COMP_CNT: 0
; COMPUTE_PGM_RSRC3_GFX90A:ACCUM_OFFSET: 1
; COMPUTE_PGM_RSRC3_GFX90A:TG_SPLIT: 0
	.section	.text._ZN4vllm18convert_fp8_kernelI14__hip_bfloat16hLNS_18Fp8KVCacheDataTypeE1EEEvPKT0_PT_fl,"axG",@progbits,_ZN4vllm18convert_fp8_kernelI14__hip_bfloat16hLNS_18Fp8KVCacheDataTypeE1EEEvPKT0_PT_fl,comdat
	.protected	_ZN4vllm18convert_fp8_kernelI14__hip_bfloat16hLNS_18Fp8KVCacheDataTypeE1EEEvPKT0_PT_fl ; -- Begin function _ZN4vllm18convert_fp8_kernelI14__hip_bfloat16hLNS_18Fp8KVCacheDataTypeE1EEEvPKT0_PT_fl
	.globl	_ZN4vllm18convert_fp8_kernelI14__hip_bfloat16hLNS_18Fp8KVCacheDataTypeE1EEEvPKT0_PT_fl
	.p2align	8
	.type	_ZN4vllm18convert_fp8_kernelI14__hip_bfloat16hLNS_18Fp8KVCacheDataTypeE1EEEvPKT0_PT_fl,@function
_ZN4vllm18convert_fp8_kernelI14__hip_bfloat16hLNS_18Fp8KVCacheDataTypeE1EEEvPKT0_PT_fl: ; @_ZN4vllm18convert_fp8_kernelI14__hip_bfloat16hLNS_18Fp8KVCacheDataTypeE1EEEvPKT0_PT_fl
; %bb.0:
	s_load_dwordx2 s[8:9], s[0:1], 0x18
	v_mov_b32_e32 v1, 0
	s_waitcnt lgkmcnt(0)
	v_cmp_gt_i64_e32 vcc, s[8:9], v[0:1]
	s_and_saveexec_b64 s[4:5], vcc
	s_cbranch_execz .LBB38_7
; %bb.1:
	s_load_dwordx4 s[4:7], s[0:1], 0x0
	s_load_dword s12, s[0:1], 0x10
	s_load_dword s3, s[0:1], 0x2c
	s_mul_i32 s0, s2, s9
	s_mul_hi_u32 s1, s2, s8
	s_add_i32 s1, s1, s0
	s_mul_i32 s0, s2, s8
	s_waitcnt lgkmcnt(0)
	s_and_b32 s13, s3, 0xffff
	v_add_u32_e32 v2, s13, v0
	s_mov_b64 s[2:3], 0
	s_mov_b32 s14, 0x7f800000
	s_movk_i32 s15, 0x7fff
	v_mov_b64_e32 v[4:5], v[0:1]
	s_branch .LBB38_3
.LBB38_2:                               ;   in Loop: Header=BB38_3 Depth=1
	s_or_b64 exec, exec, s[10:11]
	v_lshl_add_u64 v[4:5], v[4:5], 1, s[6:7]
	global_store_short_d16_hi v[4:5], v3, off
	v_ashrrev_i32_e32 v3, 31, v2
	v_cmp_le_i64_e32 vcc, s[8:9], v[2:3]
	v_mov_b64_e32 v[4:5], v[2:3]
	s_or_b64 s[2:3], vcc, s[2:3]
	v_add_u32_e32 v2, s13, v2
	s_andn2_b64 exec, exec, s[2:3]
	s_cbranch_execz .LBB38_7
.LBB38_3:                               ; =>This Inner Loop Header: Depth=1
	v_lshl_add_u64 v[4:5], v[4:5], 0, s[0:1]
	v_lshl_add_u64 v[6:7], s[4:5], 0, v[4:5]
	global_load_ubyte v0, v[6:7], off
	s_waitcnt vmcnt(0)
	v_cvt_f32_fp8_sdwa v0, v0 src0_sel:BYTE_0
	s_nop 0
	v_mul_f32_e32 v0, s12, v0
	v_and_b32_e32 v3, 0x7f800000, v0
	v_cmp_ne_u32_e32 vcc, s14, v3
                                        ; implicit-def: $vgpr3
	s_and_saveexec_b64 s[10:11], vcc
	s_xor_b64 s[10:11], exec, s[10:11]
; %bb.4:                                ;   in Loop: Header=BB38_3 Depth=1
	v_bfe_u32 v3, v0, 16, 1
	v_add3_u32 v3, v0, v3, s15
                                        ; implicit-def: $vgpr0
; %bb.5:                                ;   in Loop: Header=BB38_3 Depth=1
	s_andn2_saveexec_b64 s[10:11], s[10:11]
	s_cbranch_execz .LBB38_2
; %bb.6:                                ;   in Loop: Header=BB38_3 Depth=1
	v_or_b32_e32 v3, 0x10000, v0
	v_cmp_eq_u32_sdwa vcc, v0, v1 src0_sel:WORD_0 src1_sel:DWORD
	s_nop 1
	v_cndmask_b32_e32 v3, v3, v0, vcc
	s_branch .LBB38_2
.LBB38_7:
	s_endpgm
	.section	.rodata,"a",@progbits
	.p2align	6, 0x0
	.amdhsa_kernel _ZN4vllm18convert_fp8_kernelI14__hip_bfloat16hLNS_18Fp8KVCacheDataTypeE1EEEvPKT0_PT_fl
		.amdhsa_group_segment_fixed_size 0
		.amdhsa_private_segment_fixed_size 0
		.amdhsa_kernarg_size 288
		.amdhsa_user_sgpr_count 2
		.amdhsa_user_sgpr_dispatch_ptr 0
		.amdhsa_user_sgpr_queue_ptr 0
		.amdhsa_user_sgpr_kernarg_segment_ptr 1
		.amdhsa_user_sgpr_dispatch_id 0
		.amdhsa_user_sgpr_kernarg_preload_length 0
		.amdhsa_user_sgpr_kernarg_preload_offset 0
		.amdhsa_user_sgpr_private_segment_size 0
		.amdhsa_uses_dynamic_stack 0
		.amdhsa_enable_private_segment 0
		.amdhsa_system_sgpr_workgroup_id_x 1
		.amdhsa_system_sgpr_workgroup_id_y 0
		.amdhsa_system_sgpr_workgroup_id_z 0
		.amdhsa_system_sgpr_workgroup_info 0
		.amdhsa_system_vgpr_workitem_id 0
		.amdhsa_next_free_vgpr 8
		.amdhsa_next_free_sgpr 16
		.amdhsa_accum_offset 8
		.amdhsa_reserve_vcc 1
		.amdhsa_float_round_mode_32 0
		.amdhsa_float_round_mode_16_64 0
		.amdhsa_float_denorm_mode_32 3
		.amdhsa_float_denorm_mode_16_64 3
		.amdhsa_dx10_clamp 1
		.amdhsa_ieee_mode 1
		.amdhsa_fp16_overflow 0
		.amdhsa_tg_split 0
		.amdhsa_exception_fp_ieee_invalid_op 0
		.amdhsa_exception_fp_denorm_src 0
		.amdhsa_exception_fp_ieee_div_zero 0
		.amdhsa_exception_fp_ieee_overflow 0
		.amdhsa_exception_fp_ieee_underflow 0
		.amdhsa_exception_fp_ieee_inexact 0
		.amdhsa_exception_int_div_zero 0
	.end_amdhsa_kernel
	.section	.text._ZN4vllm18convert_fp8_kernelI14__hip_bfloat16hLNS_18Fp8KVCacheDataTypeE1EEEvPKT0_PT_fl,"axG",@progbits,_ZN4vllm18convert_fp8_kernelI14__hip_bfloat16hLNS_18Fp8KVCacheDataTypeE1EEEvPKT0_PT_fl,comdat
.Lfunc_end38:
	.size	_ZN4vllm18convert_fp8_kernelI14__hip_bfloat16hLNS_18Fp8KVCacheDataTypeE1EEEvPKT0_PT_fl, .Lfunc_end38-_ZN4vllm18convert_fp8_kernelI14__hip_bfloat16hLNS_18Fp8KVCacheDataTypeE1EEEvPKT0_PT_fl
                                        ; -- End function
	.section	.AMDGPU.csdata,"",@progbits
; Kernel info:
; codeLenInByte = 276
; NumSgprs: 22
; NumVgprs: 8
; NumAgprs: 0
; TotalNumVgprs: 8
; ScratchSize: 0
; MemoryBound: 0
; FloatMode: 240
; IeeeMode: 1
; LDSByteSize: 0 bytes/workgroup (compile time only)
; SGPRBlocks: 2
; VGPRBlocks: 0
; NumSGPRsForWavesPerEU: 22
; NumVGPRsForWavesPerEU: 8
; AccumOffset: 8
; Occupancy: 8
; WaveLimiterHint : 0
; COMPUTE_PGM_RSRC2:SCRATCH_EN: 0
; COMPUTE_PGM_RSRC2:USER_SGPR: 2
; COMPUTE_PGM_RSRC2:TRAP_HANDLER: 0
; COMPUTE_PGM_RSRC2:TGID_X_EN: 1
; COMPUTE_PGM_RSRC2:TGID_Y_EN: 0
; COMPUTE_PGM_RSRC2:TGID_Z_EN: 0
; COMPUTE_PGM_RSRC2:TIDIG_COMP_CNT: 0
; COMPUTE_PGM_RSRC3_GFX90A:ACCUM_OFFSET: 1
; COMPUTE_PGM_RSRC3_GFX90A:TG_SPLIT: 0
	.section	.text._ZN4vllm30gather_and_maybe_dequant_cacheIffLNS_18Fp8KVCacheDataTypeE0ELi576ELi64EEEvPKT0_PT_PKiS8_S8_iillllPKfS8_,"axG",@progbits,_ZN4vllm30gather_and_maybe_dequant_cacheIffLNS_18Fp8KVCacheDataTypeE0ELi576ELi64EEEvPKT0_PT_PKiS8_S8_iillllPKfS8_,comdat
	.protected	_ZN4vllm30gather_and_maybe_dequant_cacheIffLNS_18Fp8KVCacheDataTypeE0ELi576ELi64EEEvPKT0_PT_PKiS8_S8_iillllPKfS8_ ; -- Begin function _ZN4vllm30gather_and_maybe_dequant_cacheIffLNS_18Fp8KVCacheDataTypeE0ELi576ELi64EEEvPKT0_PT_PKiS8_S8_iillllPKfS8_
	.globl	_ZN4vllm30gather_and_maybe_dequant_cacheIffLNS_18Fp8KVCacheDataTypeE0ELi576ELi64EEEvPKT0_PT_PKiS8_S8_iillllPKfS8_
	.p2align	8
	.type	_ZN4vllm30gather_and_maybe_dequant_cacheIffLNS_18Fp8KVCacheDataTypeE0ELi576ELi64EEEvPKT0_PT_PKiS8_S8_iillllPKfS8_,@function
_ZN4vllm30gather_and_maybe_dequant_cacheIffLNS_18Fp8KVCacheDataTypeE0ELi576ELi64EEEvPKT0_PT_PKiS8_S8_iillllPKfS8_: ; @_ZN4vllm30gather_and_maybe_dequant_cacheIffLNS_18Fp8KVCacheDataTypeE0ELi576ELi64EEEvPKT0_PT_PKiS8_S8_iillllPKfS8_
; %bb.0:
	s_mov_b64 s[24:25], s[0:1]
	s_load_dword s0, s[0:1], 0x6c
	s_mov_b32 s22, s2
	s_add_u32 s34, s24, 0x60
	v_mov_b32_e32 v41, v0
	s_addc_u32 s35, s25, 0
	s_waitcnt lgkmcnt(0)
	v_cmp_eq_u16_e64 s[2:3], s0, 64
	s_mov_b64 s[0:1], -1
	s_and_b64 vcc, exec, s[2:3]
	s_mov_b32 s32, 0
	s_cbranch_vccnz .LBB39_2
; %bb.1:
	s_add_u32 s8, s24, 0x60
	s_addc_u32 s9, s25, 0
	s_getpc_b64 s[0:1]
	s_add_u32 s0, s0, .str.2@rel32@lo+4
	s_addc_u32 s1, s1, .str.2@rel32@hi+12
	s_getpc_b64 s[2:3]
	s_add_u32 s2, s2, .str.3@rel32@lo+4
	s_addc_u32 s3, s3, .str.3@rel32@hi+12
	s_getpc_b64 s[4:5]
	s_add_u32 s4, s4, __PRETTY_FUNCTION__._ZN4vllm30gather_and_maybe_dequant_cacheIffLNS_18Fp8KVCacheDataTypeE0ELi576ELi64EEEvPKT0_PT_PKiS8_S8_iillllPKfS8_@rel32@lo+4
	s_addc_u32 s5, s5, __PRETTY_FUNCTION__._ZN4vllm30gather_and_maybe_dequant_cacheIffLNS_18Fp8KVCacheDataTypeE0ELi576ELi64EEEvPKT0_PT_PKiS8_S8_iillllPKfS8_@rel32@hi+12
	v_mov_b32_e32 v0, s0
	v_mov_b32_e32 v1, s1
	;; [unrolled: 1-line block ×7, first 2 shown]
	s_getpc_b64 s[6:7]
	s_add_u32 s6, s6, __assert_fail@rel32@lo+4
	s_addc_u32 s7, s7, __assert_fail@rel32@hi+12
	s_swappc_b64 s[30:31], s[6:7]
	s_mov_b64 s[0:1], 0
	; divergent unreachable
.LBB39_2:
	s_andn2_b64 vcc, exec, s[0:1]
	s_cbranch_vccnz .LBB39_13
; %bb.3:
	s_load_dwordx2 s[20:21], s[24:25], 0x28
	s_waitcnt lgkmcnt(0)
	s_cmp_ge_i32 s22, s20
	s_cbranch_scc1 .LBB39_13
; %bb.4:
	s_load_dwordx2 s[26:27], s[24:25], 0x58
	s_load_dwordx8 s[4:11], s[24:25], 0x0
	s_load_dwordx2 s[28:29], s[24:25], 0x20
	s_load_dword s33, s[34:35], 0x0
	s_load_dwordx8 s[12:19], s[24:25], 0x30
	s_waitcnt lgkmcnt(0)
	s_cmp_lg_u64 s[26:27], 0
	s_cselect_b64 s[2:3], -1, 0
	s_abs_i32 s36, s21
	v_cvt_f32_u32_e32 v0, s36
	v_lshlrev_b32_e32 v2, 4, v41
	v_mov_b32_e32 v3, 0
	s_movk_i32 s0, 0x90
	v_rcp_iflag_f32_e32 v0, v0
	v_subrev_u32_e32 v8, 64, v41
	v_cmp_gt_u32_e64 s[0:1], s0, v41
	s_ashr_i32 s13, s21, 31
	v_mul_f32_e32 v0, 0x4f7ffffe, v0
	v_cvt_u32_f32_e32 v4, v0
	v_lshl_add_u64 v[0:1], s[4:5], 0, v[2:3]
	s_sub_i32 s4, 0, s36
	v_lshl_add_u64 v[2:3], s[6:7], 0, v[2:3]
	v_readfirstlane_b32 s5, v4
	s_mul_i32 s4, s4, s5
	s_mul_hi_u32 s4, s5, s4
	v_cndmask_b32_e64 v4, 0, 1, s[2:3]
	s_add_i32 s37, s5, s4
	s_lshl_b64 s[4:5], s[14:15], 2
	s_lshl_b64 s[14:15], s[16:17], 2
	;; [unrolled: 1-line block ×3, first 2 shown]
	v_cmp_ne_u32_e64 s[2:3], 1, v4
	s_mov_b64 s[16:17], 0x400
	s_movk_i32 s38, 0x4f
	s_branch .LBB39_7
.LBB39_5:                               ;   in Loop: Header=BB39_7 Depth=1
	s_or_b64 exec, exec, s[18:19]
	s_add_i32 s22, s22, s33
	s_cmp_ge_i32 s22, s20
	s_cselect_b64 s[34:35], -1, 0
.LBB39_6:                               ;   in Loop: Header=BB39_7 Depth=1
	s_and_b64 vcc, exec, s[34:35]
	s_cbranch_vccnz .LBB39_13
.LBB39_7:                               ; =>This Loop Header: Depth=1
                                        ;     Child Loop BB39_12 Depth 2
	s_ashr_i32 s23, s22, 31
	s_lshl_b64 s[18:19], s[22:23], 2
	s_add_u32 s18, s28, s18
	s_addc_u32 s19, s29, s19
	s_load_dword s24, s[18:19], 0x0
	s_mov_b64 s[34:35], -1
	s_waitcnt lgkmcnt(0)
	s_ashr_i32 s25, s24, 31
	s_lshl_b64 s[18:19], s[24:25], 2
	s_add_u32 s30, s10, s18
	s_addc_u32 s31, s11, s19
	s_load_dwordx2 s[30:31], s[30:31], 0x0
	s_waitcnt lgkmcnt(0)
	s_cmp_ge_i32 s22, s31
	s_cbranch_scc1 .LBB39_6
; %bb.8:                                ;   in Loop: Header=BB39_7 Depth=1
	s_and_b64 vcc, exec, s[2:3]
	s_cbranch_vccnz .LBB39_10
; %bb.9:                                ;   in Loop: Header=BB39_7 Depth=1
	s_add_u32 s18, s26, s18
	s_addc_u32 s19, s27, s19
	s_load_dword s25, s[18:19], 0x0
	s_and_saveexec_b64 s[18:19], s[0:1]
	s_cbranch_execz .LBB39_5
	s_branch .LBB39_11
.LBB39_10:                              ;   in Loop: Header=BB39_7 Depth=1
	s_mov_b32 s25, 0
	s_and_saveexec_b64 s[18:19], s[0:1]
	s_cbranch_execz .LBB39_5
.LBB39_11:                              ;   in Loop: Header=BB39_7 Depth=1
	s_sub_i32 s30, s22, s30
	s_waitcnt lgkmcnt(0)
	s_add_i32 s25, s25, s30
	s_abs_i32 s31, s25
	s_mul_hi_u32 s34, s31, s37
	s_mul_i32 s35, s34, s36
	s_ashr_i32 s30, s25, 31
	s_sub_i32 s31, s31, s35
	s_xor_b32 s30, s30, s13
	s_add_i32 s35, s34, 1
	s_sub_i32 s39, s31, s36
	s_cmp_ge_u32 s31, s36
	s_cselect_b32 s34, s35, s34
	s_cselect_b32 s31, s39, s31
	s_add_i32 s35, s34, 1
	s_cmp_ge_u32 s31, s36
	s_cselect_b32 s31, s35, s34
	s_xor_b32 s31, s31, s30
	s_sub_i32 s30, s31, s30
	s_mul_i32 s24, s24, s12
	s_mul_i32 s31, s30, s21
	s_add_i32 s24, s30, s24
	s_sub_i32 s31, s25, s31
	s_ashr_i32 s25, s24, 31
	s_lshl_b64 s[24:25], s[24:25], 2
	s_add_u32 s24, s8, s24
	s_addc_u32 s25, s9, s25
	s_load_dword s30, s[24:25], 0x0
	s_mul_i32 s24, s7, s22
	s_mul_i32 s23, s6, s23
	v_mov_b32_e32 v4, s22
	s_add_i32 s23, s23, s24
	s_waitcnt lgkmcnt(0)
	s_ashr_i32 s34, s30, 31
	v_mad_u64_u32 v[4:5], s[24:25], s6, v4, v[2:3]
	v_add_u32_e32 v5, s23, v5
	s_mul_i32 s23, s4, s34
	s_mul_hi_u32 s24, s4, s30
	s_ashr_i32 s35, s31, 31
	s_add_i32 s23, s24, s23
	s_mul_i32 s24, s5, s30
	s_add_i32 s23, s23, s24
	s_mul_i32 s24, s4, s30
	s_mul_i32 s25, s14, s35
	s_mul_hi_u32 s30, s14, s31
	s_add_i32 s25, s30, s25
	s_mul_i32 s30, s15, s31
	s_add_i32 s25, s25, s30
	s_mul_i32 s30, s14, s31
	s_add_u32 s24, s24, s30
	s_addc_u32 s25, s23, s25
	v_lshl_add_u64 v[6:7], v[0:1], 0, s[24:25]
	s_mov_b64 s[24:25], 0
	v_mov_b32_e32 v9, v8
.LBB39_12:                              ;   Parent Loop BB39_7 Depth=1
                                        ; =>  This Inner Loop Header: Depth=2
	global_load_dwordx4 v[10:13], v[6:7], off
	v_add_u32_e32 v9, 64, v9
	v_cmp_lt_u32_e32 vcc, s38, v9
	v_lshl_add_u64 v[6:7], v[6:7], 0, s[16:17]
	s_or_b64 s[24:25], vcc, s[24:25]
	s_waitcnt vmcnt(0)
	global_store_dwordx4 v[4:5], v[10:13], off
	v_lshl_add_u64 v[4:5], v[4:5], 0, s[16:17]
	s_andn2_b64 exec, exec, s[24:25]
	s_cbranch_execnz .LBB39_12
	s_branch .LBB39_5
.LBB39_13:
	s_endpgm
	.section	.rodata,"a",@progbits
	.p2align	6, 0x0
	.amdhsa_kernel _ZN4vllm30gather_and_maybe_dequant_cacheIffLNS_18Fp8KVCacheDataTypeE0ELi576ELi64EEEvPKT0_PT_PKiS8_S8_iillllPKfS8_
		.amdhsa_group_segment_fixed_size 0
		.amdhsa_private_segment_fixed_size 64
		.amdhsa_kernarg_size 352
		.amdhsa_user_sgpr_count 2
		.amdhsa_user_sgpr_dispatch_ptr 0
		.amdhsa_user_sgpr_queue_ptr 0
		.amdhsa_user_sgpr_kernarg_segment_ptr 1
		.amdhsa_user_sgpr_dispatch_id 0
		.amdhsa_user_sgpr_kernarg_preload_length 0
		.amdhsa_user_sgpr_kernarg_preload_offset 0
		.amdhsa_user_sgpr_private_segment_size 0
		.amdhsa_uses_dynamic_stack 0
		.amdhsa_enable_private_segment 1
		.amdhsa_system_sgpr_workgroup_id_x 1
		.amdhsa_system_sgpr_workgroup_id_y 0
		.amdhsa_system_sgpr_workgroup_id_z 0
		.amdhsa_system_sgpr_workgroup_info 0
		.amdhsa_system_vgpr_workitem_id 0
		.amdhsa_next_free_vgpr 53
		.amdhsa_next_free_sgpr 40
		.amdhsa_accum_offset 56
		.amdhsa_reserve_vcc 1
		.amdhsa_float_round_mode_32 0
		.amdhsa_float_round_mode_16_64 0
		.amdhsa_float_denorm_mode_32 3
		.amdhsa_float_denorm_mode_16_64 3
		.amdhsa_dx10_clamp 1
		.amdhsa_ieee_mode 1
		.amdhsa_fp16_overflow 0
		.amdhsa_tg_split 0
		.amdhsa_exception_fp_ieee_invalid_op 0
		.amdhsa_exception_fp_denorm_src 0
		.amdhsa_exception_fp_ieee_div_zero 0
		.amdhsa_exception_fp_ieee_overflow 0
		.amdhsa_exception_fp_ieee_underflow 0
		.amdhsa_exception_fp_ieee_inexact 0
		.amdhsa_exception_int_div_zero 0
	.end_amdhsa_kernel
	.section	.text._ZN4vllm30gather_and_maybe_dequant_cacheIffLNS_18Fp8KVCacheDataTypeE0ELi576ELi64EEEvPKT0_PT_PKiS8_S8_iillllPKfS8_,"axG",@progbits,_ZN4vllm30gather_and_maybe_dequant_cacheIffLNS_18Fp8KVCacheDataTypeE0ELi576ELi64EEEvPKT0_PT_PKiS8_S8_iillllPKfS8_,comdat
.Lfunc_end39:
	.size	_ZN4vllm30gather_and_maybe_dequant_cacheIffLNS_18Fp8KVCacheDataTypeE0ELi576ELi64EEEvPKT0_PT_PKiS8_S8_iillllPKfS8_, .Lfunc_end39-_ZN4vllm30gather_and_maybe_dequant_cacheIffLNS_18Fp8KVCacheDataTypeE0ELi576ELi64EEEvPKT0_PT_PKiS8_S8_iillllPKfS8_
                                        ; -- End function
	.section	.AMDGPU.csdata,"",@progbits
; Kernel info:
; codeLenInByte = 836
; NumSgprs: 46
; NumVgprs: 53
; NumAgprs: 0
; TotalNumVgprs: 53
; ScratchSize: 64
; MemoryBound: 0
; FloatMode: 240
; IeeeMode: 1
; LDSByteSize: 0 bytes/workgroup (compile time only)
; SGPRBlocks: 5
; VGPRBlocks: 6
; NumSGPRsForWavesPerEU: 46
; NumVGPRsForWavesPerEU: 53
; AccumOffset: 56
; Occupancy: 8
; WaveLimiterHint : 1
; COMPUTE_PGM_RSRC2:SCRATCH_EN: 1
; COMPUTE_PGM_RSRC2:USER_SGPR: 2
; COMPUTE_PGM_RSRC2:TRAP_HANDLER: 0
; COMPUTE_PGM_RSRC2:TGID_X_EN: 1
; COMPUTE_PGM_RSRC2:TGID_Y_EN: 0
; COMPUTE_PGM_RSRC2:TGID_Z_EN: 0
; COMPUTE_PGM_RSRC2:TIDIG_COMP_CNT: 0
; COMPUTE_PGM_RSRC3_GFX90A:ACCUM_OFFSET: 13
; COMPUTE_PGM_RSRC3_GFX90A:TG_SPLIT: 0
	.section	.text._ZN4vllm30gather_and_maybe_dequant_cacheIttLNS_18Fp8KVCacheDataTypeE0ELi576ELi64EEEvPKT0_PT_PKiS8_S8_iillllPKfS8_,"axG",@progbits,_ZN4vllm30gather_and_maybe_dequant_cacheIttLNS_18Fp8KVCacheDataTypeE0ELi576ELi64EEEvPKT0_PT_PKiS8_S8_iillllPKfS8_,comdat
	.protected	_ZN4vllm30gather_and_maybe_dequant_cacheIttLNS_18Fp8KVCacheDataTypeE0ELi576ELi64EEEvPKT0_PT_PKiS8_S8_iillllPKfS8_ ; -- Begin function _ZN4vllm30gather_and_maybe_dequant_cacheIttLNS_18Fp8KVCacheDataTypeE0ELi576ELi64EEEvPKT0_PT_PKiS8_S8_iillllPKfS8_
	.globl	_ZN4vllm30gather_and_maybe_dequant_cacheIttLNS_18Fp8KVCacheDataTypeE0ELi576ELi64EEEvPKT0_PT_PKiS8_S8_iillllPKfS8_
	.p2align	8
	.type	_ZN4vllm30gather_and_maybe_dequant_cacheIttLNS_18Fp8KVCacheDataTypeE0ELi576ELi64EEEvPKT0_PT_PKiS8_S8_iillllPKfS8_,@function
_ZN4vllm30gather_and_maybe_dequant_cacheIttLNS_18Fp8KVCacheDataTypeE0ELi576ELi64EEEvPKT0_PT_PKiS8_S8_iillllPKfS8_: ; @_ZN4vllm30gather_and_maybe_dequant_cacheIttLNS_18Fp8KVCacheDataTypeE0ELi576ELi64EEEvPKT0_PT_PKiS8_S8_iillllPKfS8_
; %bb.0:
	s_mov_b64 s[24:25], s[0:1]
	s_load_dword s0, s[0:1], 0x6c
	s_mov_b32 s22, s2
	s_add_u32 s34, s24, 0x60
	v_mov_b32_e32 v41, v0
	s_addc_u32 s35, s25, 0
	s_waitcnt lgkmcnt(0)
	v_cmp_eq_u16_e64 s[2:3], s0, 64
	s_mov_b64 s[0:1], -1
	s_and_b64 vcc, exec, s[2:3]
	s_mov_b32 s32, 0
	s_cbranch_vccnz .LBB40_2
; %bb.1:
	s_add_u32 s8, s24, 0x60
	s_addc_u32 s9, s25, 0
	s_getpc_b64 s[0:1]
	s_add_u32 s0, s0, .str.2@rel32@lo+4
	s_addc_u32 s1, s1, .str.2@rel32@hi+12
	s_getpc_b64 s[2:3]
	s_add_u32 s2, s2, .str.3@rel32@lo+4
	s_addc_u32 s3, s3, .str.3@rel32@hi+12
	s_getpc_b64 s[4:5]
	s_add_u32 s4, s4, __PRETTY_FUNCTION__._ZN4vllm30gather_and_maybe_dequant_cacheIttLNS_18Fp8KVCacheDataTypeE0ELi576ELi64EEEvPKT0_PT_PKiS8_S8_iillllPKfS8_@rel32@lo+4
	s_addc_u32 s5, s5, __PRETTY_FUNCTION__._ZN4vllm30gather_and_maybe_dequant_cacheIttLNS_18Fp8KVCacheDataTypeE0ELi576ELi64EEEvPKT0_PT_PKiS8_S8_iillllPKfS8_@rel32@hi+12
	v_mov_b32_e32 v0, s0
	v_mov_b32_e32 v1, s1
	;; [unrolled: 1-line block ×7, first 2 shown]
	s_getpc_b64 s[6:7]
	s_add_u32 s6, s6, __assert_fail@rel32@lo+4
	s_addc_u32 s7, s7, __assert_fail@rel32@hi+12
	s_swappc_b64 s[30:31], s[6:7]
	s_mov_b64 s[0:1], 0
	; divergent unreachable
.LBB40_2:
	s_andn2_b64 vcc, exec, s[0:1]
	s_cbranch_vccnz .LBB40_13
; %bb.3:
	s_load_dwordx2 s[20:21], s[24:25], 0x28
	s_waitcnt lgkmcnt(0)
	s_cmp_ge_i32 s22, s20
	s_cbranch_scc1 .LBB40_13
; %bb.4:
	s_load_dwordx2 s[26:27], s[24:25], 0x58
	s_load_dwordx8 s[4:11], s[24:25], 0x0
	s_load_dwordx2 s[28:29], s[24:25], 0x20
	s_load_dword s33, s[34:35], 0x0
	s_load_dwordx8 s[12:19], s[24:25], 0x30
	s_waitcnt lgkmcnt(0)
	s_cmp_lg_u64 s[26:27], 0
	s_cselect_b64 s[2:3], -1, 0
	s_abs_i32 s36, s21
	v_cvt_f32_u32_e32 v0, s36
	v_lshlrev_b32_e32 v2, 4, v41
	v_mov_b32_e32 v3, 0
	s_movk_i32 s0, 0x48
	v_rcp_iflag_f32_e32 v0, v0
	v_subrev_u32_e32 v8, 64, v41
	v_cmp_gt_u32_e64 s[0:1], s0, v41
	s_ashr_i32 s13, s21, 31
	v_mul_f32_e32 v0, 0x4f7ffffe, v0
	v_cvt_u32_f32_e32 v4, v0
	v_lshl_add_u64 v[0:1], s[4:5], 0, v[2:3]
	s_sub_i32 s4, 0, s36
	v_lshl_add_u64 v[2:3], s[6:7], 0, v[2:3]
	v_readfirstlane_b32 s5, v4
	s_mul_i32 s4, s4, s5
	s_mul_hi_u32 s4, s5, s4
	v_cndmask_b32_e64 v4, 0, 1, s[2:3]
	s_add_i32 s37, s5, s4
	s_lshl_b64 s[4:5], s[14:15], 1
	s_lshl_b64 s[14:15], s[16:17], 1
	;; [unrolled: 1-line block ×3, first 2 shown]
	v_cmp_ne_u32_e64 s[2:3], 1, v4
	s_mov_b64 s[16:17], 0x400
	s_branch .LBB40_7
.LBB40_5:                               ;   in Loop: Header=BB40_7 Depth=1
	s_or_b64 exec, exec, s[18:19]
	s_add_i32 s22, s22, s33
	s_cmp_ge_i32 s22, s20
	s_cselect_b64 s[34:35], -1, 0
.LBB40_6:                               ;   in Loop: Header=BB40_7 Depth=1
	s_and_b64 vcc, exec, s[34:35]
	s_cbranch_vccnz .LBB40_13
.LBB40_7:                               ; =>This Loop Header: Depth=1
                                        ;     Child Loop BB40_12 Depth 2
	s_ashr_i32 s23, s22, 31
	s_lshl_b64 s[18:19], s[22:23], 2
	s_add_u32 s18, s28, s18
	s_addc_u32 s19, s29, s19
	s_load_dword s24, s[18:19], 0x0
	s_mov_b64 s[34:35], -1
	s_waitcnt lgkmcnt(0)
	s_ashr_i32 s25, s24, 31
	s_lshl_b64 s[18:19], s[24:25], 2
	s_add_u32 s30, s10, s18
	s_addc_u32 s31, s11, s19
	s_load_dwordx2 s[30:31], s[30:31], 0x0
	s_waitcnt lgkmcnt(0)
	s_cmp_ge_i32 s22, s31
	s_cbranch_scc1 .LBB40_6
; %bb.8:                                ;   in Loop: Header=BB40_7 Depth=1
	s_and_b64 vcc, exec, s[2:3]
	s_cbranch_vccnz .LBB40_10
; %bb.9:                                ;   in Loop: Header=BB40_7 Depth=1
	s_add_u32 s18, s26, s18
	s_addc_u32 s19, s27, s19
	s_load_dword s25, s[18:19], 0x0
	s_and_saveexec_b64 s[18:19], s[0:1]
	s_cbranch_execz .LBB40_5
	s_branch .LBB40_11
.LBB40_10:                              ;   in Loop: Header=BB40_7 Depth=1
	s_mov_b32 s25, 0
	s_and_saveexec_b64 s[18:19], s[0:1]
	s_cbranch_execz .LBB40_5
.LBB40_11:                              ;   in Loop: Header=BB40_7 Depth=1
	s_sub_i32 s30, s22, s30
	s_waitcnt lgkmcnt(0)
	s_add_i32 s25, s25, s30
	s_abs_i32 s31, s25
	s_mul_hi_u32 s34, s31, s37
	s_mul_i32 s35, s34, s36
	s_ashr_i32 s30, s25, 31
	s_sub_i32 s31, s31, s35
	s_xor_b32 s30, s30, s13
	s_add_i32 s35, s34, 1
	s_sub_i32 s38, s31, s36
	s_cmp_ge_u32 s31, s36
	s_cselect_b32 s34, s35, s34
	s_cselect_b32 s31, s38, s31
	s_add_i32 s35, s34, 1
	s_cmp_ge_u32 s31, s36
	s_cselect_b32 s31, s35, s34
	s_xor_b32 s31, s31, s30
	s_sub_i32 s30, s31, s30
	s_mul_i32 s24, s24, s12
	s_mul_i32 s31, s30, s21
	s_add_i32 s24, s30, s24
	s_sub_i32 s31, s25, s31
	s_ashr_i32 s25, s24, 31
	s_lshl_b64 s[24:25], s[24:25], 2
	s_add_u32 s24, s8, s24
	s_addc_u32 s25, s9, s25
	s_load_dword s30, s[24:25], 0x0
	s_mul_i32 s24, s7, s22
	s_mul_i32 s23, s6, s23
	v_mov_b32_e32 v4, s22
	s_add_i32 s23, s23, s24
	s_waitcnt lgkmcnt(0)
	s_ashr_i32 s34, s30, 31
	v_mad_u64_u32 v[4:5], s[24:25], s6, v4, v[2:3]
	v_add_u32_e32 v5, s23, v5
	s_mul_i32 s23, s4, s34
	s_mul_hi_u32 s24, s4, s30
	s_ashr_i32 s35, s31, 31
	s_add_i32 s23, s24, s23
	s_mul_i32 s24, s5, s30
	s_add_i32 s23, s23, s24
	s_mul_i32 s24, s4, s30
	s_mul_i32 s25, s14, s35
	s_mul_hi_u32 s30, s14, s31
	s_add_i32 s25, s30, s25
	s_mul_i32 s30, s15, s31
	s_add_i32 s25, s25, s30
	s_mul_i32 s30, s14, s31
	s_add_u32 s24, s24, s30
	s_addc_u32 s25, s23, s25
	v_lshl_add_u64 v[6:7], v[0:1], 0, s[24:25]
	s_mov_b64 s[24:25], 0
	v_mov_b32_e32 v9, v8
.LBB40_12:                              ;   Parent Loop BB40_7 Depth=1
                                        ; =>  This Inner Loop Header: Depth=2
	global_load_dwordx4 v[10:13], v[6:7], off
	v_add_u32_e32 v9, 64, v9
	v_cmp_lt_u32_e32 vcc, 7, v9
	v_lshl_add_u64 v[6:7], v[6:7], 0, s[16:17]
	s_or_b64 s[24:25], vcc, s[24:25]
	s_waitcnt vmcnt(0)
	global_store_dwordx4 v[4:5], v[10:13], off
	v_lshl_add_u64 v[4:5], v[4:5], 0, s[16:17]
	s_andn2_b64 exec, exec, s[24:25]
	s_cbranch_execnz .LBB40_12
	s_branch .LBB40_5
.LBB40_13:
	s_endpgm
	.section	.rodata,"a",@progbits
	.p2align	6, 0x0
	.amdhsa_kernel _ZN4vllm30gather_and_maybe_dequant_cacheIttLNS_18Fp8KVCacheDataTypeE0ELi576ELi64EEEvPKT0_PT_PKiS8_S8_iillllPKfS8_
		.amdhsa_group_segment_fixed_size 0
		.amdhsa_private_segment_fixed_size 64
		.amdhsa_kernarg_size 352
		.amdhsa_user_sgpr_count 2
		.amdhsa_user_sgpr_dispatch_ptr 0
		.amdhsa_user_sgpr_queue_ptr 0
		.amdhsa_user_sgpr_kernarg_segment_ptr 1
		.amdhsa_user_sgpr_dispatch_id 0
		.amdhsa_user_sgpr_kernarg_preload_length 0
		.amdhsa_user_sgpr_kernarg_preload_offset 0
		.amdhsa_user_sgpr_private_segment_size 0
		.amdhsa_uses_dynamic_stack 0
		.amdhsa_enable_private_segment 1
		.amdhsa_system_sgpr_workgroup_id_x 1
		.amdhsa_system_sgpr_workgroup_id_y 0
		.amdhsa_system_sgpr_workgroup_id_z 0
		.amdhsa_system_sgpr_workgroup_info 0
		.amdhsa_system_vgpr_workitem_id 0
		.amdhsa_next_free_vgpr 53
		.amdhsa_next_free_sgpr 39
		.amdhsa_accum_offset 56
		.amdhsa_reserve_vcc 1
		.amdhsa_float_round_mode_32 0
		.amdhsa_float_round_mode_16_64 0
		.amdhsa_float_denorm_mode_32 3
		.amdhsa_float_denorm_mode_16_64 3
		.amdhsa_dx10_clamp 1
		.amdhsa_ieee_mode 1
		.amdhsa_fp16_overflow 0
		.amdhsa_tg_split 0
		.amdhsa_exception_fp_ieee_invalid_op 0
		.amdhsa_exception_fp_denorm_src 0
		.amdhsa_exception_fp_ieee_div_zero 0
		.amdhsa_exception_fp_ieee_overflow 0
		.amdhsa_exception_fp_ieee_underflow 0
		.amdhsa_exception_fp_ieee_inexact 0
		.amdhsa_exception_int_div_zero 0
	.end_amdhsa_kernel
	.section	.text._ZN4vllm30gather_and_maybe_dequant_cacheIttLNS_18Fp8KVCacheDataTypeE0ELi576ELi64EEEvPKT0_PT_PKiS8_S8_iillllPKfS8_,"axG",@progbits,_ZN4vllm30gather_and_maybe_dequant_cacheIttLNS_18Fp8KVCacheDataTypeE0ELi576ELi64EEEvPKT0_PT_PKiS8_S8_iillllPKfS8_,comdat
.Lfunc_end40:
	.size	_ZN4vllm30gather_and_maybe_dequant_cacheIttLNS_18Fp8KVCacheDataTypeE0ELi576ELi64EEEvPKT0_PT_PKiS8_S8_iillllPKfS8_, .Lfunc_end40-_ZN4vllm30gather_and_maybe_dequant_cacheIttLNS_18Fp8KVCacheDataTypeE0ELi576ELi64EEEvPKT0_PT_PKiS8_S8_iillllPKfS8_
                                        ; -- End function
	.section	.AMDGPU.csdata,"",@progbits
; Kernel info:
; codeLenInByte = 832
; NumSgprs: 45
; NumVgprs: 53
; NumAgprs: 0
; TotalNumVgprs: 53
; ScratchSize: 64
; MemoryBound: 0
; FloatMode: 240
; IeeeMode: 1
; LDSByteSize: 0 bytes/workgroup (compile time only)
; SGPRBlocks: 5
; VGPRBlocks: 6
; NumSGPRsForWavesPerEU: 45
; NumVGPRsForWavesPerEU: 53
; AccumOffset: 56
; Occupancy: 8
; WaveLimiterHint : 1
; COMPUTE_PGM_RSRC2:SCRATCH_EN: 1
; COMPUTE_PGM_RSRC2:USER_SGPR: 2
; COMPUTE_PGM_RSRC2:TRAP_HANDLER: 0
; COMPUTE_PGM_RSRC2:TGID_X_EN: 1
; COMPUTE_PGM_RSRC2:TGID_Y_EN: 0
; COMPUTE_PGM_RSRC2:TGID_Z_EN: 0
; COMPUTE_PGM_RSRC2:TIDIG_COMP_CNT: 0
; COMPUTE_PGM_RSRC3_GFX90A:ACCUM_OFFSET: 13
; COMPUTE_PGM_RSRC3_GFX90A:TG_SPLIT: 0
	.section	.text._ZN4vllm30gather_and_maybe_dequant_cacheI14__hip_bfloat16S1_LNS_18Fp8KVCacheDataTypeE0ELi576ELi64EEEvPKT0_PT_PKiS9_S9_iillllPKfS9_,"axG",@progbits,_ZN4vllm30gather_and_maybe_dequant_cacheI14__hip_bfloat16S1_LNS_18Fp8KVCacheDataTypeE0ELi576ELi64EEEvPKT0_PT_PKiS9_S9_iillllPKfS9_,comdat
	.protected	_ZN4vllm30gather_and_maybe_dequant_cacheI14__hip_bfloat16S1_LNS_18Fp8KVCacheDataTypeE0ELi576ELi64EEEvPKT0_PT_PKiS9_S9_iillllPKfS9_ ; -- Begin function _ZN4vllm30gather_and_maybe_dequant_cacheI14__hip_bfloat16S1_LNS_18Fp8KVCacheDataTypeE0ELi576ELi64EEEvPKT0_PT_PKiS9_S9_iillllPKfS9_
	.globl	_ZN4vllm30gather_and_maybe_dequant_cacheI14__hip_bfloat16S1_LNS_18Fp8KVCacheDataTypeE0ELi576ELi64EEEvPKT0_PT_PKiS9_S9_iillllPKfS9_
	.p2align	8
	.type	_ZN4vllm30gather_and_maybe_dequant_cacheI14__hip_bfloat16S1_LNS_18Fp8KVCacheDataTypeE0ELi576ELi64EEEvPKT0_PT_PKiS9_S9_iillllPKfS9_,@function
_ZN4vllm30gather_and_maybe_dequant_cacheI14__hip_bfloat16S1_LNS_18Fp8KVCacheDataTypeE0ELi576ELi64EEEvPKT0_PT_PKiS9_S9_iillllPKfS9_: ; @_ZN4vllm30gather_and_maybe_dequant_cacheI14__hip_bfloat16S1_LNS_18Fp8KVCacheDataTypeE0ELi576ELi64EEEvPKT0_PT_PKiS9_S9_iillllPKfS9_
; %bb.0:
	s_mov_b64 s[24:25], s[0:1]
	s_load_dword s0, s[0:1], 0x6c
	s_mov_b32 s22, s2
	s_add_u32 s34, s24, 0x60
	v_mov_b32_e32 v41, v0
	s_addc_u32 s35, s25, 0
	s_waitcnt lgkmcnt(0)
	v_cmp_eq_u16_e64 s[2:3], s0, 64
	s_mov_b64 s[0:1], -1
	s_and_b64 vcc, exec, s[2:3]
	s_mov_b32 s32, 0
	s_cbranch_vccnz .LBB41_2
; %bb.1:
	s_add_u32 s8, s24, 0x60
	s_addc_u32 s9, s25, 0
	s_getpc_b64 s[0:1]
	s_add_u32 s0, s0, .str.2@rel32@lo+4
	s_addc_u32 s1, s1, .str.2@rel32@hi+12
	s_getpc_b64 s[2:3]
	s_add_u32 s2, s2, .str.3@rel32@lo+4
	s_addc_u32 s3, s3, .str.3@rel32@hi+12
	s_getpc_b64 s[4:5]
	s_add_u32 s4, s4, __PRETTY_FUNCTION__._ZN4vllm30gather_and_maybe_dequant_cacheI14__hip_bfloat16S1_LNS_18Fp8KVCacheDataTypeE0ELi576ELi64EEEvPKT0_PT_PKiS9_S9_iillllPKfS9_@rel32@lo+4
	s_addc_u32 s5, s5, __PRETTY_FUNCTION__._ZN4vllm30gather_and_maybe_dequant_cacheI14__hip_bfloat16S1_LNS_18Fp8KVCacheDataTypeE0ELi576ELi64EEEvPKT0_PT_PKiS9_S9_iillllPKfS9_@rel32@hi+12
	v_mov_b32_e32 v0, s0
	v_mov_b32_e32 v1, s1
	;; [unrolled: 1-line block ×7, first 2 shown]
	s_getpc_b64 s[6:7]
	s_add_u32 s6, s6, __assert_fail@rel32@lo+4
	s_addc_u32 s7, s7, __assert_fail@rel32@hi+12
	s_swappc_b64 s[30:31], s[6:7]
	s_mov_b64 s[0:1], 0
	; divergent unreachable
.LBB41_2:
	s_andn2_b64 vcc, exec, s[0:1]
	s_cbranch_vccnz .LBB41_13
; %bb.3:
	s_load_dwordx2 s[20:21], s[24:25], 0x28
	s_waitcnt lgkmcnt(0)
	s_cmp_ge_i32 s22, s20
	s_cbranch_scc1 .LBB41_13
; %bb.4:
	s_load_dwordx2 s[26:27], s[24:25], 0x58
	s_load_dwordx8 s[4:11], s[24:25], 0x0
	s_load_dwordx2 s[28:29], s[24:25], 0x20
	s_load_dword s33, s[34:35], 0x0
	s_load_dwordx8 s[12:19], s[24:25], 0x30
	s_waitcnt lgkmcnt(0)
	s_cmp_lg_u64 s[26:27], 0
	s_cselect_b64 s[2:3], -1, 0
	s_abs_i32 s36, s21
	v_cvt_f32_u32_e32 v0, s36
	v_lshlrev_b32_e32 v2, 4, v41
	v_mov_b32_e32 v3, 0
	s_movk_i32 s0, 0x48
	v_rcp_iflag_f32_e32 v0, v0
	v_subrev_u32_e32 v8, 64, v41
	v_cmp_gt_u32_e64 s[0:1], s0, v41
	s_ashr_i32 s13, s21, 31
	v_mul_f32_e32 v0, 0x4f7ffffe, v0
	v_cvt_u32_f32_e32 v4, v0
	v_lshl_add_u64 v[0:1], s[4:5], 0, v[2:3]
	s_sub_i32 s4, 0, s36
	v_lshl_add_u64 v[2:3], s[6:7], 0, v[2:3]
	v_readfirstlane_b32 s5, v4
	s_mul_i32 s4, s4, s5
	s_mul_hi_u32 s4, s5, s4
	v_cndmask_b32_e64 v4, 0, 1, s[2:3]
	s_add_i32 s37, s5, s4
	s_lshl_b64 s[4:5], s[14:15], 1
	s_lshl_b64 s[14:15], s[16:17], 1
	;; [unrolled: 1-line block ×3, first 2 shown]
	v_cmp_ne_u32_e64 s[2:3], 1, v4
	s_mov_b64 s[16:17], 0x400
	s_branch .LBB41_7
.LBB41_5:                               ;   in Loop: Header=BB41_7 Depth=1
	s_or_b64 exec, exec, s[18:19]
	s_add_i32 s22, s22, s33
	s_cmp_ge_i32 s22, s20
	s_cselect_b64 s[34:35], -1, 0
.LBB41_6:                               ;   in Loop: Header=BB41_7 Depth=1
	s_and_b64 vcc, exec, s[34:35]
	s_cbranch_vccnz .LBB41_13
.LBB41_7:                               ; =>This Loop Header: Depth=1
                                        ;     Child Loop BB41_12 Depth 2
	s_ashr_i32 s23, s22, 31
	s_lshl_b64 s[18:19], s[22:23], 2
	s_add_u32 s18, s28, s18
	s_addc_u32 s19, s29, s19
	s_load_dword s24, s[18:19], 0x0
	s_mov_b64 s[34:35], -1
	s_waitcnt lgkmcnt(0)
	s_ashr_i32 s25, s24, 31
	s_lshl_b64 s[18:19], s[24:25], 2
	s_add_u32 s30, s10, s18
	s_addc_u32 s31, s11, s19
	s_load_dwordx2 s[30:31], s[30:31], 0x0
	s_waitcnt lgkmcnt(0)
	s_cmp_ge_i32 s22, s31
	s_cbranch_scc1 .LBB41_6
; %bb.8:                                ;   in Loop: Header=BB41_7 Depth=1
	s_and_b64 vcc, exec, s[2:3]
	s_cbranch_vccnz .LBB41_10
; %bb.9:                                ;   in Loop: Header=BB41_7 Depth=1
	s_add_u32 s18, s26, s18
	s_addc_u32 s19, s27, s19
	s_load_dword s25, s[18:19], 0x0
	s_and_saveexec_b64 s[18:19], s[0:1]
	s_cbranch_execz .LBB41_5
	s_branch .LBB41_11
.LBB41_10:                              ;   in Loop: Header=BB41_7 Depth=1
	s_mov_b32 s25, 0
	s_and_saveexec_b64 s[18:19], s[0:1]
	s_cbranch_execz .LBB41_5
.LBB41_11:                              ;   in Loop: Header=BB41_7 Depth=1
	s_sub_i32 s30, s22, s30
	s_waitcnt lgkmcnt(0)
	s_add_i32 s25, s25, s30
	s_abs_i32 s31, s25
	s_mul_hi_u32 s34, s31, s37
	s_mul_i32 s35, s34, s36
	s_ashr_i32 s30, s25, 31
	s_sub_i32 s31, s31, s35
	s_xor_b32 s30, s30, s13
	s_add_i32 s35, s34, 1
	s_sub_i32 s38, s31, s36
	s_cmp_ge_u32 s31, s36
	s_cselect_b32 s34, s35, s34
	s_cselect_b32 s31, s38, s31
	s_add_i32 s35, s34, 1
	s_cmp_ge_u32 s31, s36
	s_cselect_b32 s31, s35, s34
	s_xor_b32 s31, s31, s30
	s_sub_i32 s30, s31, s30
	s_mul_i32 s24, s24, s12
	s_mul_i32 s31, s30, s21
	s_add_i32 s24, s30, s24
	s_sub_i32 s31, s25, s31
	s_ashr_i32 s25, s24, 31
	s_lshl_b64 s[24:25], s[24:25], 2
	s_add_u32 s24, s8, s24
	s_addc_u32 s25, s9, s25
	s_load_dword s30, s[24:25], 0x0
	s_mul_i32 s24, s7, s22
	s_mul_i32 s23, s6, s23
	v_mov_b32_e32 v4, s22
	s_add_i32 s23, s23, s24
	s_waitcnt lgkmcnt(0)
	s_ashr_i32 s34, s30, 31
	v_mad_u64_u32 v[4:5], s[24:25], s6, v4, v[2:3]
	v_add_u32_e32 v5, s23, v5
	s_mul_i32 s23, s4, s34
	s_mul_hi_u32 s24, s4, s30
	s_ashr_i32 s35, s31, 31
	s_add_i32 s23, s24, s23
	s_mul_i32 s24, s5, s30
	s_add_i32 s23, s23, s24
	s_mul_i32 s24, s4, s30
	s_mul_i32 s25, s14, s35
	s_mul_hi_u32 s30, s14, s31
	s_add_i32 s25, s30, s25
	s_mul_i32 s30, s15, s31
	s_add_i32 s25, s25, s30
	s_mul_i32 s30, s14, s31
	s_add_u32 s24, s24, s30
	s_addc_u32 s25, s23, s25
	v_lshl_add_u64 v[6:7], v[0:1], 0, s[24:25]
	s_mov_b64 s[24:25], 0
	v_mov_b32_e32 v9, v8
.LBB41_12:                              ;   Parent Loop BB41_7 Depth=1
                                        ; =>  This Inner Loop Header: Depth=2
	global_load_dwordx4 v[10:13], v[6:7], off
	v_add_u32_e32 v9, 64, v9
	v_cmp_lt_u32_e32 vcc, 7, v9
	v_lshl_add_u64 v[6:7], v[6:7], 0, s[16:17]
	s_or_b64 s[24:25], vcc, s[24:25]
	s_waitcnt vmcnt(0)
	global_store_dwordx4 v[4:5], v[10:13], off
	v_lshl_add_u64 v[4:5], v[4:5], 0, s[16:17]
	s_andn2_b64 exec, exec, s[24:25]
	s_cbranch_execnz .LBB41_12
	s_branch .LBB41_5
.LBB41_13:
	s_endpgm
	.section	.rodata,"a",@progbits
	.p2align	6, 0x0
	.amdhsa_kernel _ZN4vllm30gather_and_maybe_dequant_cacheI14__hip_bfloat16S1_LNS_18Fp8KVCacheDataTypeE0ELi576ELi64EEEvPKT0_PT_PKiS9_S9_iillllPKfS9_
		.amdhsa_group_segment_fixed_size 0
		.amdhsa_private_segment_fixed_size 64
		.amdhsa_kernarg_size 352
		.amdhsa_user_sgpr_count 2
		.amdhsa_user_sgpr_dispatch_ptr 0
		.amdhsa_user_sgpr_queue_ptr 0
		.amdhsa_user_sgpr_kernarg_segment_ptr 1
		.amdhsa_user_sgpr_dispatch_id 0
		.amdhsa_user_sgpr_kernarg_preload_length 0
		.amdhsa_user_sgpr_kernarg_preload_offset 0
		.amdhsa_user_sgpr_private_segment_size 0
		.amdhsa_uses_dynamic_stack 0
		.amdhsa_enable_private_segment 1
		.amdhsa_system_sgpr_workgroup_id_x 1
		.amdhsa_system_sgpr_workgroup_id_y 0
		.amdhsa_system_sgpr_workgroup_id_z 0
		.amdhsa_system_sgpr_workgroup_info 0
		.amdhsa_system_vgpr_workitem_id 0
		.amdhsa_next_free_vgpr 53
		.amdhsa_next_free_sgpr 39
		.amdhsa_accum_offset 56
		.amdhsa_reserve_vcc 1
		.amdhsa_float_round_mode_32 0
		.amdhsa_float_round_mode_16_64 0
		.amdhsa_float_denorm_mode_32 3
		.amdhsa_float_denorm_mode_16_64 3
		.amdhsa_dx10_clamp 1
		.amdhsa_ieee_mode 1
		.amdhsa_fp16_overflow 0
		.amdhsa_tg_split 0
		.amdhsa_exception_fp_ieee_invalid_op 0
		.amdhsa_exception_fp_denorm_src 0
		.amdhsa_exception_fp_ieee_div_zero 0
		.amdhsa_exception_fp_ieee_overflow 0
		.amdhsa_exception_fp_ieee_underflow 0
		.amdhsa_exception_fp_ieee_inexact 0
		.amdhsa_exception_int_div_zero 0
	.end_amdhsa_kernel
	.section	.text._ZN4vllm30gather_and_maybe_dequant_cacheI14__hip_bfloat16S1_LNS_18Fp8KVCacheDataTypeE0ELi576ELi64EEEvPKT0_PT_PKiS9_S9_iillllPKfS9_,"axG",@progbits,_ZN4vllm30gather_and_maybe_dequant_cacheI14__hip_bfloat16S1_LNS_18Fp8KVCacheDataTypeE0ELi576ELi64EEEvPKT0_PT_PKiS9_S9_iillllPKfS9_,comdat
.Lfunc_end41:
	.size	_ZN4vllm30gather_and_maybe_dequant_cacheI14__hip_bfloat16S1_LNS_18Fp8KVCacheDataTypeE0ELi576ELi64EEEvPKT0_PT_PKiS9_S9_iillllPKfS9_, .Lfunc_end41-_ZN4vllm30gather_and_maybe_dequant_cacheI14__hip_bfloat16S1_LNS_18Fp8KVCacheDataTypeE0ELi576ELi64EEEvPKT0_PT_PKiS9_S9_iillllPKfS9_
                                        ; -- End function
	.section	.AMDGPU.csdata,"",@progbits
; Kernel info:
; codeLenInByte = 832
; NumSgprs: 45
; NumVgprs: 53
; NumAgprs: 0
; TotalNumVgprs: 53
; ScratchSize: 64
; MemoryBound: 0
; FloatMode: 240
; IeeeMode: 1
; LDSByteSize: 0 bytes/workgroup (compile time only)
; SGPRBlocks: 5
; VGPRBlocks: 6
; NumSGPRsForWavesPerEU: 45
; NumVGPRsForWavesPerEU: 53
; AccumOffset: 56
; Occupancy: 8
; WaveLimiterHint : 1
; COMPUTE_PGM_RSRC2:SCRATCH_EN: 1
; COMPUTE_PGM_RSRC2:USER_SGPR: 2
; COMPUTE_PGM_RSRC2:TRAP_HANDLER: 0
; COMPUTE_PGM_RSRC2:TGID_X_EN: 1
; COMPUTE_PGM_RSRC2:TGID_Y_EN: 0
; COMPUTE_PGM_RSRC2:TGID_Z_EN: 0
; COMPUTE_PGM_RSRC2:TIDIG_COMP_CNT: 0
; COMPUTE_PGM_RSRC3_GFX90A:ACCUM_OFFSET: 13
; COMPUTE_PGM_RSRC3_GFX90A:TG_SPLIT: 0
	.section	.text._ZN4vllm30gather_and_maybe_dequant_cacheIfhLNS_18Fp8KVCacheDataTypeE1ELi576ELi64EEEvPKT0_PT_PKiS8_S8_iillllPKfS8_,"axG",@progbits,_ZN4vllm30gather_and_maybe_dequant_cacheIfhLNS_18Fp8KVCacheDataTypeE1ELi576ELi64EEEvPKT0_PT_PKiS8_S8_iillllPKfS8_,comdat
	.protected	_ZN4vllm30gather_and_maybe_dequant_cacheIfhLNS_18Fp8KVCacheDataTypeE1ELi576ELi64EEEvPKT0_PT_PKiS8_S8_iillllPKfS8_ ; -- Begin function _ZN4vllm30gather_and_maybe_dequant_cacheIfhLNS_18Fp8KVCacheDataTypeE1ELi576ELi64EEEvPKT0_PT_PKiS8_S8_iillllPKfS8_
	.globl	_ZN4vllm30gather_and_maybe_dequant_cacheIfhLNS_18Fp8KVCacheDataTypeE1ELi576ELi64EEEvPKT0_PT_PKiS8_S8_iillllPKfS8_
	.p2align	8
	.type	_ZN4vllm30gather_and_maybe_dequant_cacheIfhLNS_18Fp8KVCacheDataTypeE1ELi576ELi64EEEvPKT0_PT_PKiS8_S8_iillllPKfS8_,@function
_ZN4vllm30gather_and_maybe_dequant_cacheIfhLNS_18Fp8KVCacheDataTypeE1ELi576ELi64EEEvPKT0_PT_PKiS8_S8_iillllPKfS8_: ; @_ZN4vllm30gather_and_maybe_dequant_cacheIfhLNS_18Fp8KVCacheDataTypeE1ELi576ELi64EEEvPKT0_PT_PKiS8_S8_iillllPKfS8_
; %bb.0:
	s_mov_b64 s[24:25], s[0:1]
	s_load_dword s0, s[0:1], 0x6c
	s_mov_b32 s22, s2
	s_add_u32 s34, s24, 0x60
	v_mov_b32_e32 v41, v0
	s_addc_u32 s35, s25, 0
	s_waitcnt lgkmcnt(0)
	v_cmp_eq_u16_e64 s[2:3], s0, 64
	s_mov_b64 s[0:1], -1
	s_and_b64 vcc, exec, s[2:3]
	s_mov_b32 s32, 0
	s_cbranch_vccnz .LBB42_2
; %bb.1:
	s_add_u32 s8, s24, 0x60
	s_addc_u32 s9, s25, 0
	s_getpc_b64 s[0:1]
	s_add_u32 s0, s0, .str.2@rel32@lo+4
	s_addc_u32 s1, s1, .str.2@rel32@hi+12
	s_getpc_b64 s[2:3]
	s_add_u32 s2, s2, .str.3@rel32@lo+4
	s_addc_u32 s3, s3, .str.3@rel32@hi+12
	s_getpc_b64 s[4:5]
	s_add_u32 s4, s4, __PRETTY_FUNCTION__._ZN4vllm30gather_and_maybe_dequant_cacheIfhLNS_18Fp8KVCacheDataTypeE1ELi576ELi64EEEvPKT0_PT_PKiS8_S8_iillllPKfS8_@rel32@lo+4
	s_addc_u32 s5, s5, __PRETTY_FUNCTION__._ZN4vllm30gather_and_maybe_dequant_cacheIfhLNS_18Fp8KVCacheDataTypeE1ELi576ELi64EEEvPKT0_PT_PKiS8_S8_iillllPKfS8_@rel32@hi+12
	v_mov_b32_e32 v0, s0
	v_mov_b32_e32 v1, s1
	;; [unrolled: 1-line block ×7, first 2 shown]
	s_getpc_b64 s[6:7]
	s_add_u32 s6, s6, __assert_fail@rel32@lo+4
	s_addc_u32 s7, s7, __assert_fail@rel32@hi+12
	s_swappc_b64 s[30:31], s[6:7]
	s_mov_b64 s[0:1], 0
	; divergent unreachable
.LBB42_2:
	s_andn2_b64 vcc, exec, s[0:1]
	s_cbranch_vccnz .LBB42_13
; %bb.3:
	s_load_dwordx2 s[20:21], s[24:25], 0x28
	s_waitcnt lgkmcnt(0)
	s_cmp_ge_i32 s22, s20
	s_cbranch_scc1 .LBB42_13
; %bb.4:
	s_load_dwordx4 s[28:31], s[24:25], 0x50
	s_load_dwordx8 s[4:11], s[24:25], 0x0
	s_load_dwordx2 s[26:27], s[24:25], 0x20
	s_load_dword s33, s[34:35], 0x0
	s_load_dwordx8 s[12:19], s[24:25], 0x30
	s_waitcnt lgkmcnt(0)
	s_cmp_lg_u64 s[30:31], 0
	s_cselect_b64 s[2:3], -1, 0
	s_abs_i32 s40, s21
	v_cvt_f32_u32_e32 v0, s40
	v_lshlrev_b32_e32 v2, 2, v41
	v_mov_b32_e32 v3, 0
	s_movk_i32 s0, 0x90
	v_rcp_iflag_f32_e32 v0, v0
	v_subrev_u32_e32 v8, 64, v41
	v_cmp_gt_u32_e64 s[0:1], s0, v41
	s_ashr_i32 s13, s21, 31
	v_mul_f32_e32 v0, 0x4f7ffffe, v0
	v_cvt_u32_f32_e32 v4, v0
	v_lshl_add_u64 v[0:1], s[4:5], 0, v[2:3]
	s_sub_i32 s4, 0, s40
	v_lshlrev_b32_e32 v2, 4, v41
	v_readfirstlane_b32 s5, v4
	s_mul_i32 s4, s4, s5
	s_mul_hi_u32 s4, s5, s4
	v_lshl_add_u64 v[2:3], v[2:3], 0, s[6:7]
	v_cndmask_b32_e64 v4, 0, 1, s[2:3]
	s_add_i32 s41, s5, s4
	v_lshl_add_u64 v[2:3], v[2:3], 0, 8
	s_lshl_b64 s[4:5], s[18:19], 2
	v_cmp_ne_u32_e64 s[2:3], 1, v4
	s_mov_b64 s[6:7], 0x100
	s_mov_b64 s[18:19], 0x400
	s_movk_i32 s42, 0x4f
	s_branch .LBB42_7
.LBB42_5:                               ;   in Loop: Header=BB42_7 Depth=1
	s_or_b64 exec, exec, s[24:25]
	s_add_i32 s22, s22, s33
	s_cmp_ge_i32 s22, s20
	s_cselect_b64 s[38:39], -1, 0
.LBB42_6:                               ;   in Loop: Header=BB42_7 Depth=1
	s_and_b64 vcc, exec, s[38:39]
	s_cbranch_vccnz .LBB42_13
.LBB42_7:                               ; =>This Loop Header: Depth=1
                                        ;     Child Loop BB42_12 Depth 2
	s_ashr_i32 s23, s22, 31
	s_lshl_b64 s[24:25], s[22:23], 2
	s_add_u32 s24, s26, s24
	s_addc_u32 s25, s27, s25
	s_load_dword s34, s[24:25], 0x0
	s_mov_b64 s[38:39], -1
	s_waitcnt lgkmcnt(0)
	s_ashr_i32 s35, s34, 31
	s_lshl_b64 s[24:25], s[34:35], 2
	s_add_u32 s36, s10, s24
	s_addc_u32 s37, s11, s25
	s_load_dwordx2 s[36:37], s[36:37], 0x0
	s_waitcnt lgkmcnt(0)
	s_cmp_ge_i32 s22, s37
	s_cbranch_scc1 .LBB42_6
; %bb.8:                                ;   in Loop: Header=BB42_7 Depth=1
	s_and_b64 vcc, exec, s[2:3]
	s_cbranch_vccnz .LBB42_10
; %bb.9:                                ;   in Loop: Header=BB42_7 Depth=1
	s_add_u32 s24, s30, s24
	s_addc_u32 s25, s31, s25
	s_load_dword s35, s[24:25], 0x0
	s_and_saveexec_b64 s[24:25], s[0:1]
	s_cbranch_execz .LBB42_5
	s_branch .LBB42_11
.LBB42_10:                              ;   in Loop: Header=BB42_7 Depth=1
	s_mov_b32 s35, 0
	s_and_saveexec_b64 s[24:25], s[0:1]
	s_cbranch_execz .LBB42_5
.LBB42_11:                              ;   in Loop: Header=BB42_7 Depth=1
	s_sub_i32 s36, s22, s36
	s_waitcnt lgkmcnt(0)
	s_add_i32 s35, s35, s36
	s_abs_i32 s37, s35
	s_mul_hi_u32 s38, s37, s41
	s_mul_i32 s39, s38, s40
	s_ashr_i32 s36, s35, 31
	s_sub_i32 s37, s37, s39
	s_xor_b32 s36, s36, s13
	s_add_i32 s39, s38, 1
	s_sub_i32 s43, s37, s40
	s_cmp_ge_u32 s37, s40
	s_cselect_b32 s38, s39, s38
	s_cselect_b32 s37, s43, s37
	s_add_i32 s39, s38, 1
	s_cmp_ge_u32 s37, s40
	s_cselect_b32 s37, s39, s38
	s_xor_b32 s37, s37, s36
	s_sub_i32 s36, s37, s36
	s_mul_i32 s34, s34, s12
	s_mul_i32 s37, s36, s21
	s_add_i32 s34, s36, s34
	s_sub_i32 s37, s35, s37
	s_ashr_i32 s35, s34, 31
	s_lshl_b64 s[34:35], s[34:35], 2
	s_add_u32 s34, s8, s34
	s_addc_u32 s35, s9, s35
	s_load_dword s34, s[34:35], 0x0
	s_mul_i32 s23, s4, s23
	v_mov_b32_e32 v4, s22
	s_mul_i32 s44, s37, s16
	v_mov_b32_e32 v9, v8
	s_waitcnt lgkmcnt(0)
	s_ashr_i32 s35, s34, 31
	s_mul_i32 s36, s34, s15
	s_mul_hi_u32 s38, s34, s14
	s_add_i32 s36, s38, s36
	s_mul_i32 s35, s35, s14
	s_add_i32 s38, s36, s35
	s_mul_i32 s39, s34, s14
	s_ashr_i32 s34, s37, 31
	s_mul_i32 s35, s37, s17
	s_mul_hi_u32 s36, s37, s16
	s_add_i32 s35, s36, s35
	s_mul_i32 s34, s34, s16
	s_add_i32 s43, s35, s34
	s_mul_i32 s34, s5, s22
	s_add_i32 s23, s23, s34
	s_load_dword s34, s[28:29], 0x0
	v_mad_u64_u32 v[4:5], s[36:37], s4, v4, v[2:3]
	s_add_u32 s36, s39, s44
	s_addc_u32 s37, s38, s43
	v_add_u32_e32 v5, s23, v5
	s_waitcnt lgkmcnt(0)
	s_mov_b32 s35, s34
	v_lshl_add_u64 v[6:7], v[0:1], 0, s[36:37]
	s_mov_b64 s[36:37], 0
.LBB42_12:                              ;   Parent Loop BB42_7 Depth=1
                                        ; =>  This Inner Loop Header: Depth=2
	global_load_dword v10, v[6:7], off
	v_add_u32_e32 v9, 64, v9
	v_cmp_lt_u32_e32 vcc, s42, v9
	v_lshl_add_u64 v[6:7], v[6:7], 0, s[6:7]
	s_or_b64 s[36:37], vcc, s[36:37]
	s_waitcnt vmcnt(0)
	v_lshrrev_b32_e32 v13, 24, v10
	v_and_b32_e32 v11, 0xff, v10
	v_bfe_u32 v12, v10, 8, 8
	v_bfe_u32 v14, v10, 16, 8
	v_cvt_f32_fp8_sdwa v10, v11 src0_sel:BYTE_0
	v_cvt_f32_fp8_sdwa v11, v12 src0_sel:BYTE_0
	;; [unrolled: 1-line block ×4, first 2 shown]
	v_pk_mul_f32 v[10:11], s[34:35], v[10:11]
	v_pk_mul_f32 v[12:13], s[34:35], v[12:13]
	global_store_dwordx4 v[4:5], v[10:13], off offset:-8
	v_lshl_add_u64 v[4:5], v[4:5], 0, s[18:19]
	s_andn2_b64 exec, exec, s[36:37]
	s_cbranch_execnz .LBB42_12
	s_branch .LBB42_5
.LBB42_13:
	s_endpgm
	.section	.rodata,"a",@progbits
	.p2align	6, 0x0
	.amdhsa_kernel _ZN4vllm30gather_and_maybe_dequant_cacheIfhLNS_18Fp8KVCacheDataTypeE1ELi576ELi64EEEvPKT0_PT_PKiS8_S8_iillllPKfS8_
		.amdhsa_group_segment_fixed_size 0
		.amdhsa_private_segment_fixed_size 64
		.amdhsa_kernarg_size 352
		.amdhsa_user_sgpr_count 2
		.amdhsa_user_sgpr_dispatch_ptr 0
		.amdhsa_user_sgpr_queue_ptr 0
		.amdhsa_user_sgpr_kernarg_segment_ptr 1
		.amdhsa_user_sgpr_dispatch_id 0
		.amdhsa_user_sgpr_kernarg_preload_length 0
		.amdhsa_user_sgpr_kernarg_preload_offset 0
		.amdhsa_user_sgpr_private_segment_size 0
		.amdhsa_uses_dynamic_stack 0
		.amdhsa_enable_private_segment 1
		.amdhsa_system_sgpr_workgroup_id_x 1
		.amdhsa_system_sgpr_workgroup_id_y 0
		.amdhsa_system_sgpr_workgroup_id_z 0
		.amdhsa_system_sgpr_workgroup_info 0
		.amdhsa_system_vgpr_workitem_id 0
		.amdhsa_next_free_vgpr 53
		.amdhsa_next_free_sgpr 45
		.amdhsa_accum_offset 56
		.amdhsa_reserve_vcc 1
		.amdhsa_float_round_mode_32 0
		.amdhsa_float_round_mode_16_64 0
		.amdhsa_float_denorm_mode_32 3
		.amdhsa_float_denorm_mode_16_64 3
		.amdhsa_dx10_clamp 1
		.amdhsa_ieee_mode 1
		.amdhsa_fp16_overflow 0
		.amdhsa_tg_split 0
		.amdhsa_exception_fp_ieee_invalid_op 0
		.amdhsa_exception_fp_denorm_src 0
		.amdhsa_exception_fp_ieee_div_zero 0
		.amdhsa_exception_fp_ieee_overflow 0
		.amdhsa_exception_fp_ieee_underflow 0
		.amdhsa_exception_fp_ieee_inexact 0
		.amdhsa_exception_int_div_zero 0
	.end_amdhsa_kernel
	.section	.text._ZN4vllm30gather_and_maybe_dequant_cacheIfhLNS_18Fp8KVCacheDataTypeE1ELi576ELi64EEEvPKT0_PT_PKiS8_S8_iillllPKfS8_,"axG",@progbits,_ZN4vllm30gather_and_maybe_dequant_cacheIfhLNS_18Fp8KVCacheDataTypeE1ELi576ELi64EEEvPKT0_PT_PKiS8_S8_iillllPKfS8_,comdat
.Lfunc_end42:
	.size	_ZN4vllm30gather_and_maybe_dequant_cacheIfhLNS_18Fp8KVCacheDataTypeE1ELi576ELi64EEEvPKT0_PT_PKiS8_S8_iillllPKfS8_, .Lfunc_end42-_ZN4vllm30gather_and_maybe_dequant_cacheIfhLNS_18Fp8KVCacheDataTypeE1ELi576ELi64EEEvPKT0_PT_PKiS8_S8_iillllPKfS8_
                                        ; -- End function
	.section	.AMDGPU.csdata,"",@progbits
; Kernel info:
; codeLenInByte = 940
; NumSgprs: 51
; NumVgprs: 53
; NumAgprs: 0
; TotalNumVgprs: 53
; ScratchSize: 64
; MemoryBound: 0
; FloatMode: 240
; IeeeMode: 1
; LDSByteSize: 0 bytes/workgroup (compile time only)
; SGPRBlocks: 6
; VGPRBlocks: 6
; NumSGPRsForWavesPerEU: 51
; NumVGPRsForWavesPerEU: 53
; AccumOffset: 56
; Occupancy: 8
; WaveLimiterHint : 1
; COMPUTE_PGM_RSRC2:SCRATCH_EN: 1
; COMPUTE_PGM_RSRC2:USER_SGPR: 2
; COMPUTE_PGM_RSRC2:TRAP_HANDLER: 0
; COMPUTE_PGM_RSRC2:TGID_X_EN: 1
; COMPUTE_PGM_RSRC2:TGID_Y_EN: 0
; COMPUTE_PGM_RSRC2:TGID_Z_EN: 0
; COMPUTE_PGM_RSRC2:TIDIG_COMP_CNT: 0
; COMPUTE_PGM_RSRC3_GFX90A:ACCUM_OFFSET: 13
; COMPUTE_PGM_RSRC3_GFX90A:TG_SPLIT: 0
	.section	.text._ZN4vllm30gather_and_maybe_dequant_cacheIthLNS_18Fp8KVCacheDataTypeE1ELi576ELi64EEEvPKT0_PT_PKiS8_S8_iillllPKfS8_,"axG",@progbits,_ZN4vllm30gather_and_maybe_dequant_cacheIthLNS_18Fp8KVCacheDataTypeE1ELi576ELi64EEEvPKT0_PT_PKiS8_S8_iillllPKfS8_,comdat
	.protected	_ZN4vllm30gather_and_maybe_dequant_cacheIthLNS_18Fp8KVCacheDataTypeE1ELi576ELi64EEEvPKT0_PT_PKiS8_S8_iillllPKfS8_ ; -- Begin function _ZN4vllm30gather_and_maybe_dequant_cacheIthLNS_18Fp8KVCacheDataTypeE1ELi576ELi64EEEvPKT0_PT_PKiS8_S8_iillllPKfS8_
	.globl	_ZN4vllm30gather_and_maybe_dequant_cacheIthLNS_18Fp8KVCacheDataTypeE1ELi576ELi64EEEvPKT0_PT_PKiS8_S8_iillllPKfS8_
	.p2align	8
	.type	_ZN4vllm30gather_and_maybe_dequant_cacheIthLNS_18Fp8KVCacheDataTypeE1ELi576ELi64EEEvPKT0_PT_PKiS8_S8_iillllPKfS8_,@function
_ZN4vllm30gather_and_maybe_dequant_cacheIthLNS_18Fp8KVCacheDataTypeE1ELi576ELi64EEEvPKT0_PT_PKiS8_S8_iillllPKfS8_: ; @_ZN4vllm30gather_and_maybe_dequant_cacheIthLNS_18Fp8KVCacheDataTypeE1ELi576ELi64EEEvPKT0_PT_PKiS8_S8_iillllPKfS8_
; %bb.0:
	s_mov_b64 s[24:25], s[0:1]
	s_load_dword s0, s[0:1], 0x6c
	s_mov_b32 s22, s2
	s_add_u32 s34, s24, 0x60
	v_mov_b32_e32 v41, v0
	s_addc_u32 s35, s25, 0
	s_waitcnt lgkmcnt(0)
	v_cmp_eq_u16_e64 s[2:3], s0, 64
	s_mov_b64 s[0:1], -1
	s_and_b64 vcc, exec, s[2:3]
	s_mov_b32 s32, 0
	s_cbranch_vccnz .LBB43_2
; %bb.1:
	s_add_u32 s8, s24, 0x60
	s_addc_u32 s9, s25, 0
	s_getpc_b64 s[0:1]
	s_add_u32 s0, s0, .str.2@rel32@lo+4
	s_addc_u32 s1, s1, .str.2@rel32@hi+12
	s_getpc_b64 s[2:3]
	s_add_u32 s2, s2, .str.3@rel32@lo+4
	s_addc_u32 s3, s3, .str.3@rel32@hi+12
	s_getpc_b64 s[4:5]
	s_add_u32 s4, s4, __PRETTY_FUNCTION__._ZN4vllm30gather_and_maybe_dequant_cacheIthLNS_18Fp8KVCacheDataTypeE1ELi576ELi64EEEvPKT0_PT_PKiS8_S8_iillllPKfS8_@rel32@lo+4
	s_addc_u32 s5, s5, __PRETTY_FUNCTION__._ZN4vllm30gather_and_maybe_dequant_cacheIthLNS_18Fp8KVCacheDataTypeE1ELi576ELi64EEEvPKT0_PT_PKiS8_S8_iillllPKfS8_@rel32@hi+12
	v_mov_b32_e32 v0, s0
	v_mov_b32_e32 v1, s1
	;; [unrolled: 1-line block ×7, first 2 shown]
	s_getpc_b64 s[6:7]
	s_add_u32 s6, s6, __assert_fail@rel32@lo+4
	s_addc_u32 s7, s7, __assert_fail@rel32@hi+12
	s_swappc_b64 s[30:31], s[6:7]
	s_mov_b64 s[0:1], 0
	; divergent unreachable
.LBB43_2:
	s_andn2_b64 vcc, exec, s[0:1]
	s_cbranch_vccnz .LBB43_13
; %bb.3:
	s_load_dwordx2 s[20:21], s[24:25], 0x28
	s_waitcnt lgkmcnt(0)
	s_cmp_ge_i32 s22, s20
	s_cbranch_scc1 .LBB43_13
; %bb.4:
	s_load_dwordx4 s[28:31], s[24:25], 0x50
	s_load_dwordx8 s[4:11], s[24:25], 0x0
	s_load_dwordx2 s[26:27], s[24:25], 0x20
	s_load_dword s33, s[34:35], 0x0
	s_load_dwordx8 s[12:19], s[24:25], 0x30
	s_waitcnt lgkmcnt(0)
	s_cmp_lg_u64 s[30:31], 0
	s_cselect_b64 s[2:3], -1, 0
	s_abs_i32 s40, s21
	v_cvt_f32_u32_e32 v0, s40
	v_lshlrev_b32_e32 v2, 3, v41
	v_mov_b32_e32 v3, 0
	s_movk_i32 s0, 0x48
	v_rcp_iflag_f32_e32 v0, v0
	v_subrev_u32_e32 v8, 64, v41
	v_cmp_gt_u32_e64 s[0:1], s0, v41
	s_ashr_i32 s13, s21, 31
	v_mul_f32_e32 v0, 0x4f7ffffe, v0
	v_cvt_u32_f32_e32 v4, v0
	v_lshl_add_u64 v[0:1], s[4:5], 0, v[2:3]
	s_sub_i32 s4, 0, s40
	v_lshlrev_b32_e32 v2, 4, v41
	v_readfirstlane_b32 s5, v4
	s_mul_i32 s4, s4, s5
	s_mul_hi_u32 s4, s5, s4
	v_lshl_add_u64 v[2:3], v[2:3], 0, s[6:7]
	v_cndmask_b32_e64 v4, 0, 1, s[2:3]
	s_add_i32 s41, s5, s4
	v_lshl_add_u64 v[2:3], v[2:3], 0, 14
	s_lshl_b64 s[4:5], s[18:19], 1
	v_cmp_ne_u32_e64 s[2:3], 1, v4
	s_mov_b64 s[6:7], 0x200
	s_mov_b64 s[18:19], 0x400
	s_branch .LBB43_7
.LBB43_5:                               ;   in Loop: Header=BB43_7 Depth=1
	s_or_b64 exec, exec, s[24:25]
	s_add_i32 s22, s22, s33
	s_cmp_ge_i32 s22, s20
	s_cselect_b64 s[38:39], -1, 0
.LBB43_6:                               ;   in Loop: Header=BB43_7 Depth=1
	s_and_b64 vcc, exec, s[38:39]
	s_cbranch_vccnz .LBB43_13
.LBB43_7:                               ; =>This Loop Header: Depth=1
                                        ;     Child Loop BB43_12 Depth 2
	s_ashr_i32 s23, s22, 31
	s_lshl_b64 s[24:25], s[22:23], 2
	s_add_u32 s24, s26, s24
	s_addc_u32 s25, s27, s25
	s_load_dword s34, s[24:25], 0x0
	s_mov_b64 s[38:39], -1
	s_waitcnt lgkmcnt(0)
	s_ashr_i32 s35, s34, 31
	s_lshl_b64 s[24:25], s[34:35], 2
	s_add_u32 s36, s10, s24
	s_addc_u32 s37, s11, s25
	s_load_dwordx2 s[36:37], s[36:37], 0x0
	s_waitcnt lgkmcnt(0)
	s_cmp_ge_i32 s22, s37
	s_cbranch_scc1 .LBB43_6
; %bb.8:                                ;   in Loop: Header=BB43_7 Depth=1
	s_and_b64 vcc, exec, s[2:3]
	s_cbranch_vccnz .LBB43_10
; %bb.9:                                ;   in Loop: Header=BB43_7 Depth=1
	s_add_u32 s24, s30, s24
	s_addc_u32 s25, s31, s25
	s_load_dword s35, s[24:25], 0x0
	s_and_saveexec_b64 s[24:25], s[0:1]
	s_cbranch_execz .LBB43_5
	s_branch .LBB43_11
.LBB43_10:                              ;   in Loop: Header=BB43_7 Depth=1
	s_mov_b32 s35, 0
	s_and_saveexec_b64 s[24:25], s[0:1]
	s_cbranch_execz .LBB43_5
.LBB43_11:                              ;   in Loop: Header=BB43_7 Depth=1
	s_sub_i32 s36, s22, s36
	s_waitcnt lgkmcnt(0)
	s_add_i32 s35, s35, s36
	s_abs_i32 s37, s35
	s_mul_hi_u32 s38, s37, s41
	s_mul_i32 s39, s38, s40
	s_ashr_i32 s36, s35, 31
	s_sub_i32 s37, s37, s39
	s_xor_b32 s36, s36, s13
	s_add_i32 s39, s38, 1
	s_sub_i32 s42, s37, s40
	s_cmp_ge_u32 s37, s40
	s_cselect_b32 s38, s39, s38
	s_cselect_b32 s37, s42, s37
	s_add_i32 s39, s38, 1
	s_cmp_ge_u32 s37, s40
	s_cselect_b32 s37, s39, s38
	s_xor_b32 s37, s37, s36
	s_sub_i32 s36, s37, s36
	s_mul_i32 s34, s34, s12
	s_mul_i32 s37, s36, s21
	s_add_i32 s34, s36, s34
	s_sub_i32 s37, s35, s37
	s_ashr_i32 s35, s34, 31
	s_lshl_b64 s[34:35], s[34:35], 2
	s_add_u32 s34, s8, s34
	s_addc_u32 s35, s9, s35
	s_load_dword s34, s[34:35], 0x0
	s_mul_hi_u32 s39, s37, s16
	s_mul_i32 s23, s4, s23
	v_mov_b32_e32 v4, s22
	v_mov_b32_e32 v9, v8
	s_waitcnt lgkmcnt(0)
	s_ashr_i32 s35, s34, 31
	s_mul_i32 s36, s34, s15
	s_mul_hi_u32 s38, s34, s14
	s_add_i32 s36, s38, s36
	s_mul_i32 s35, s35, s14
	s_add_i32 s36, s36, s35
	s_mul_i32 s38, s34, s14
	s_ashr_i32 s34, s37, 31
	s_mul_i32 s35, s37, s17
	s_add_i32 s35, s39, s35
	s_mul_i32 s34, s34, s16
	s_add_i32 s39, s35, s34
	;; [unrolled: 2-line block ×3, first 2 shown]
	v_mad_u64_u32 v[4:5], s[34:35], s4, v4, v[2:3]
	v_add_u32_e32 v5, s23, v5
	s_load_dword s23, s[28:29], 0x0
	s_mul_i32 s37, s37, s16
	s_add_u32 s34, s38, s37
	s_addc_u32 s35, s36, s39
	v_lshl_add_u64 v[6:7], v[0:1], 0, s[34:35]
	s_mov_b64 s[34:35], 0
.LBB43_12:                              ;   Parent Loop BB43_7 Depth=1
                                        ; =>  This Inner Loop Header: Depth=2
	global_load_dwordx2 v[10:11], v[6:7], off
	v_add_u32_e32 v9, 64, v9
	v_cmp_lt_u32_e32 vcc, 7, v9
	v_lshl_add_u64 v[6:7], v[6:7], 0, s[6:7]
	s_or_b64 s[34:35], vcc, s[34:35]
	s_waitcnt vmcnt(0)
	v_lshrrev_b32_e32 v12, 24, v10
	v_lshrrev_b32_e32 v13, 24, v11
	v_and_b32_e32 v14, 0xff, v10
	v_bfe_u32 v15, v10, 8, 8
	v_bfe_u32 v10, v10, 16, 8
	v_and_b32_e32 v16, 0xff, v11
	v_bfe_u32 v17, v11, 8, 8
	v_bfe_u32 v11, v11, 16, 8
	v_cvt_f32_fp8_sdwa v14, v14 src0_sel:BYTE_0
	v_cvt_f32_fp8_sdwa v18, v10 src0_sel:BYTE_0
	;; [unrolled: 1-line block ×8, first 2 shown]
	s_waitcnt lgkmcnt(0)
	v_fma_mixlo_f16 v10, s23, v14, 0
	v_fma_mixlo_f16 v11, s23, v18, 0
	;; [unrolled: 1-line block ×4, first 2 shown]
	v_fma_mixhi_f16 v13, s23, v20, 0
	v_fma_mixhi_f16 v11, s23, v19, 0
	;; [unrolled: 1-line block ×4, first 2 shown]
	global_store_dwordx4 v[4:5], v[10:13], off offset:-14
	v_lshl_add_u64 v[4:5], v[4:5], 0, s[18:19]
	s_andn2_b64 exec, exec, s[34:35]
	s_cbranch_execnz .LBB43_12
	s_branch .LBB43_5
.LBB43_13:
	s_endpgm
	.section	.rodata,"a",@progbits
	.p2align	6, 0x0
	.amdhsa_kernel _ZN4vllm30gather_and_maybe_dequant_cacheIthLNS_18Fp8KVCacheDataTypeE1ELi576ELi64EEEvPKT0_PT_PKiS8_S8_iillllPKfS8_
		.amdhsa_group_segment_fixed_size 0
		.amdhsa_private_segment_fixed_size 64
		.amdhsa_kernarg_size 352
		.amdhsa_user_sgpr_count 2
		.amdhsa_user_sgpr_dispatch_ptr 0
		.amdhsa_user_sgpr_queue_ptr 0
		.amdhsa_user_sgpr_kernarg_segment_ptr 1
		.amdhsa_user_sgpr_dispatch_id 0
		.amdhsa_user_sgpr_kernarg_preload_length 0
		.amdhsa_user_sgpr_kernarg_preload_offset 0
		.amdhsa_user_sgpr_private_segment_size 0
		.amdhsa_uses_dynamic_stack 0
		.amdhsa_enable_private_segment 1
		.amdhsa_system_sgpr_workgroup_id_x 1
		.amdhsa_system_sgpr_workgroup_id_y 0
		.amdhsa_system_sgpr_workgroup_id_z 0
		.amdhsa_system_sgpr_workgroup_info 0
		.amdhsa_system_vgpr_workitem_id 0
		.amdhsa_next_free_vgpr 53
		.amdhsa_next_free_sgpr 43
		.amdhsa_accum_offset 56
		.amdhsa_reserve_vcc 1
		.amdhsa_float_round_mode_32 0
		.amdhsa_float_round_mode_16_64 0
		.amdhsa_float_denorm_mode_32 3
		.amdhsa_float_denorm_mode_16_64 3
		.amdhsa_dx10_clamp 1
		.amdhsa_ieee_mode 1
		.amdhsa_fp16_overflow 0
		.amdhsa_tg_split 0
		.amdhsa_exception_fp_ieee_invalid_op 0
		.amdhsa_exception_fp_denorm_src 0
		.amdhsa_exception_fp_ieee_div_zero 0
		.amdhsa_exception_fp_ieee_overflow 0
		.amdhsa_exception_fp_ieee_underflow 0
		.amdhsa_exception_fp_ieee_inexact 0
		.amdhsa_exception_int_div_zero 0
	.end_amdhsa_kernel
	.section	.text._ZN4vllm30gather_and_maybe_dequant_cacheIthLNS_18Fp8KVCacheDataTypeE1ELi576ELi64EEEvPKT0_PT_PKiS8_S8_iillllPKfS8_,"axG",@progbits,_ZN4vllm30gather_and_maybe_dequant_cacheIthLNS_18Fp8KVCacheDataTypeE1ELi576ELi64EEEvPKT0_PT_PKiS8_S8_iillllPKfS8_,comdat
.Lfunc_end43:
	.size	_ZN4vllm30gather_and_maybe_dequant_cacheIthLNS_18Fp8KVCacheDataTypeE1ELi576ELi64EEEvPKT0_PT_PKiS8_S8_iillllPKfS8_, .Lfunc_end43-_ZN4vllm30gather_and_maybe_dequant_cacheIthLNS_18Fp8KVCacheDataTypeE1ELi576ELi64EEEvPKT0_PT_PKiS8_S8_iillllPKfS8_
                                        ; -- End function
	.section	.AMDGPU.csdata,"",@progbits
; Kernel info:
; codeLenInByte = 1040
; NumSgprs: 49
; NumVgprs: 53
; NumAgprs: 0
; TotalNumVgprs: 53
; ScratchSize: 64
; MemoryBound: 0
; FloatMode: 240
; IeeeMode: 1
; LDSByteSize: 0 bytes/workgroup (compile time only)
; SGPRBlocks: 6
; VGPRBlocks: 6
; NumSGPRsForWavesPerEU: 49
; NumVGPRsForWavesPerEU: 53
; AccumOffset: 56
; Occupancy: 8
; WaveLimiterHint : 1
; COMPUTE_PGM_RSRC2:SCRATCH_EN: 1
; COMPUTE_PGM_RSRC2:USER_SGPR: 2
; COMPUTE_PGM_RSRC2:TRAP_HANDLER: 0
; COMPUTE_PGM_RSRC2:TGID_X_EN: 1
; COMPUTE_PGM_RSRC2:TGID_Y_EN: 0
; COMPUTE_PGM_RSRC2:TGID_Z_EN: 0
; COMPUTE_PGM_RSRC2:TIDIG_COMP_CNT: 0
; COMPUTE_PGM_RSRC3_GFX90A:ACCUM_OFFSET: 13
; COMPUTE_PGM_RSRC3_GFX90A:TG_SPLIT: 0
	.section	.text._ZN4vllm30gather_and_maybe_dequant_cacheI14__hip_bfloat16hLNS_18Fp8KVCacheDataTypeE1ELi576ELi64EEEvPKT0_PT_PKiS9_S9_iillllPKfS9_,"axG",@progbits,_ZN4vllm30gather_and_maybe_dequant_cacheI14__hip_bfloat16hLNS_18Fp8KVCacheDataTypeE1ELi576ELi64EEEvPKT0_PT_PKiS9_S9_iillllPKfS9_,comdat
	.protected	_ZN4vllm30gather_and_maybe_dequant_cacheI14__hip_bfloat16hLNS_18Fp8KVCacheDataTypeE1ELi576ELi64EEEvPKT0_PT_PKiS9_S9_iillllPKfS9_ ; -- Begin function _ZN4vllm30gather_and_maybe_dequant_cacheI14__hip_bfloat16hLNS_18Fp8KVCacheDataTypeE1ELi576ELi64EEEvPKT0_PT_PKiS9_S9_iillllPKfS9_
	.globl	_ZN4vllm30gather_and_maybe_dequant_cacheI14__hip_bfloat16hLNS_18Fp8KVCacheDataTypeE1ELi576ELi64EEEvPKT0_PT_PKiS9_S9_iillllPKfS9_
	.p2align	8
	.type	_ZN4vllm30gather_and_maybe_dequant_cacheI14__hip_bfloat16hLNS_18Fp8KVCacheDataTypeE1ELi576ELi64EEEvPKT0_PT_PKiS9_S9_iillllPKfS9_,@function
_ZN4vllm30gather_and_maybe_dequant_cacheI14__hip_bfloat16hLNS_18Fp8KVCacheDataTypeE1ELi576ELi64EEEvPKT0_PT_PKiS9_S9_iillllPKfS9_: ; @_ZN4vllm30gather_and_maybe_dequant_cacheI14__hip_bfloat16hLNS_18Fp8KVCacheDataTypeE1ELi576ELi64EEEvPKT0_PT_PKiS9_S9_iillllPKfS9_
; %bb.0:
	s_mov_b64 s[24:25], s[0:1]
	s_load_dword s0, s[0:1], 0x6c
	s_mov_b32 s22, s2
	s_add_u32 s34, s24, 0x60
	v_mov_b32_e32 v41, v0
	s_addc_u32 s35, s25, 0
	s_waitcnt lgkmcnt(0)
	v_cmp_eq_u16_e64 s[2:3], s0, 64
	s_mov_b64 s[0:1], -1
	s_and_b64 vcc, exec, s[2:3]
	s_mov_b32 s32, 0
	s_cbranch_vccnz .LBB44_2
; %bb.1:
	s_add_u32 s8, s24, 0x60
	s_addc_u32 s9, s25, 0
	s_getpc_b64 s[0:1]
	s_add_u32 s0, s0, .str.2@rel32@lo+4
	s_addc_u32 s1, s1, .str.2@rel32@hi+12
	s_getpc_b64 s[2:3]
	s_add_u32 s2, s2, .str.3@rel32@lo+4
	s_addc_u32 s3, s3, .str.3@rel32@hi+12
	s_getpc_b64 s[4:5]
	s_add_u32 s4, s4, __PRETTY_FUNCTION__._ZN4vllm30gather_and_maybe_dequant_cacheI14__hip_bfloat16hLNS_18Fp8KVCacheDataTypeE1ELi576ELi64EEEvPKT0_PT_PKiS9_S9_iillllPKfS9_@rel32@lo+4
	s_addc_u32 s5, s5, __PRETTY_FUNCTION__._ZN4vllm30gather_and_maybe_dequant_cacheI14__hip_bfloat16hLNS_18Fp8KVCacheDataTypeE1ELi576ELi64EEEvPKT0_PT_PKiS9_S9_iillllPKfS9_@rel32@hi+12
	v_mov_b32_e32 v0, s0
	v_mov_b32_e32 v1, s1
	;; [unrolled: 1-line block ×7, first 2 shown]
	s_getpc_b64 s[6:7]
	s_add_u32 s6, s6, __assert_fail@rel32@lo+4
	s_addc_u32 s7, s7, __assert_fail@rel32@hi+12
	s_swappc_b64 s[30:31], s[6:7]
	s_mov_b64 s[0:1], 0
	; divergent unreachable
.LBB44_2:
	s_andn2_b64 vcc, exec, s[0:1]
	s_cbranch_vccnz .LBB44_45
; %bb.3:
	s_load_dwordx2 s[20:21], s[24:25], 0x28
	s_waitcnt lgkmcnt(0)
	s_cmp_ge_i32 s22, s20
	s_cbranch_scc1 .LBB44_45
; %bb.4:
	s_load_dwordx4 s[28:31], s[24:25], 0x50
	s_load_dwordx8 s[4:11], s[24:25], 0x0
	s_load_dwordx2 s[26:27], s[24:25], 0x20
	s_load_dword s33, s[34:35], 0x0
	s_load_dwordx8 s[12:19], s[24:25], 0x30
	s_waitcnt lgkmcnt(0)
	s_cmp_lg_u64 s[30:31], 0
	s_cselect_b64 s[2:3], -1, 0
	s_abs_i32 s40, s21
	v_cvt_f32_u32_e32 v0, s40
	v_mov_b32_e32 v1, 0
	s_movk_i32 s0, 0x48
	v_subrev_u32_e32 v12, 64, v41
	v_rcp_iflag_f32_e32 v2, v0
	v_lshlrev_b32_e32 v0, 3, v41
	v_cmp_gt_u32_e64 s[0:1], s0, v41
	s_ashr_i32 s13, s21, 31
	v_mul_f32_e32 v2, 0x4f7ffffe, v2
	v_cvt_u32_f32_e32 v4, v2
	v_lshl_add_u64 v[2:3], s[4:5], 0, v[0:1]
	s_sub_i32 s4, 0, s40
	v_lshlrev_b32_e32 v0, 4, v41
	v_readfirstlane_b32 s5, v4
	s_mul_i32 s4, s4, s5
	s_mul_hi_u32 s4, s5, s4
	v_lshl_add_u64 v[4:5], v[0:1], 0, s[6:7]
	v_cndmask_b32_e64 v0, 0, 1, s[2:3]
	s_add_i32 s41, s5, s4
	v_lshl_add_u64 v[4:5], v[4:5], 0, 14
	s_lshl_b64 s[4:5], s[18:19], 1
	v_cmp_ne_u32_e64 s[2:3], 1, v0
	s_mov_b32 s42, 0x7f800000
	s_movk_i32 s43, 0x7fff
	s_mov_b32 s44, 0x7060302
	s_mov_b64 s[6:7], 0x200
	s_mov_b64 s[18:19], 0x400
	s_branch .LBB44_7
.LBB44_5:                               ;   in Loop: Header=BB44_7 Depth=1
	s_or_b64 exec, exec, s[24:25]
	s_add_i32 s22, s22, s33
	s_cmp_ge_i32 s22, s20
	s_cselect_b64 s[38:39], -1, 0
.LBB44_6:                               ;   in Loop: Header=BB44_7 Depth=1
	s_and_b64 vcc, exec, s[38:39]
	s_cbranch_vccnz .LBB44_45
.LBB44_7:                               ; =>This Loop Header: Depth=1
                                        ;     Child Loop BB44_13 Depth 2
	s_ashr_i32 s23, s22, 31
	s_lshl_b64 s[24:25], s[22:23], 2
	s_add_u32 s24, s26, s24
	s_addc_u32 s25, s27, s25
	s_load_dword s34, s[24:25], 0x0
	s_mov_b64 s[38:39], -1
	s_waitcnt lgkmcnt(0)
	s_ashr_i32 s35, s34, 31
	s_lshl_b64 s[24:25], s[34:35], 2
	s_add_u32 s36, s10, s24
	s_addc_u32 s37, s11, s25
	s_load_dwordx2 s[36:37], s[36:37], 0x0
	s_waitcnt lgkmcnt(0)
	s_cmp_ge_i32 s22, s37
	s_cbranch_scc1 .LBB44_6
; %bb.8:                                ;   in Loop: Header=BB44_7 Depth=1
	s_and_b64 vcc, exec, s[2:3]
	s_cbranch_vccnz .LBB44_10
; %bb.9:                                ;   in Loop: Header=BB44_7 Depth=1
	s_add_u32 s24, s30, s24
	s_addc_u32 s25, s31, s25
	s_load_dword s35, s[24:25], 0x0
	s_and_saveexec_b64 s[24:25], s[0:1]
	s_cbranch_execz .LBB44_5
	s_branch .LBB44_11
.LBB44_10:                              ;   in Loop: Header=BB44_7 Depth=1
	s_mov_b32 s35, 0
	s_and_saveexec_b64 s[24:25], s[0:1]
	s_cbranch_execz .LBB44_5
.LBB44_11:                              ;   in Loop: Header=BB44_7 Depth=1
	s_sub_i32 s36, s22, s36
	s_waitcnt lgkmcnt(0)
	s_add_i32 s35, s35, s36
	s_abs_i32 s37, s35
	s_mul_hi_u32 s38, s37, s41
	s_mul_i32 s39, s38, s40
	s_ashr_i32 s36, s35, 31
	s_sub_i32 s37, s37, s39
	s_xor_b32 s36, s36, s13
	s_add_i32 s39, s38, 1
	s_sub_i32 s45, s37, s40
	s_cmp_ge_u32 s37, s40
	s_cselect_b32 s38, s39, s38
	s_cselect_b32 s37, s45, s37
	s_add_i32 s39, s38, 1
	s_cmp_ge_u32 s37, s40
	s_cselect_b32 s37, s39, s38
	s_xor_b32 s37, s37, s36
	s_sub_i32 s36, s37, s36
	s_mul_i32 s34, s34, s12
	s_mul_i32 s37, s36, s21
	s_add_i32 s34, s36, s34
	s_sub_i32 s37, s35, s37
	s_ashr_i32 s35, s34, 31
	s_lshl_b64 s[34:35], s[34:35], 2
	s_add_u32 s34, s8, s34
	s_addc_u32 s35, s9, s35
	s_load_dword s34, s[34:35], 0x0
	s_mul_hi_u32 s39, s37, s16
	s_mul_i32 s23, s4, s23
	v_mov_b32_e32 v0, s22
	s_waitcnt lgkmcnt(0)
	s_ashr_i32 s35, s34, 31
	s_mul_i32 s36, s34, s15
	s_mul_hi_u32 s38, s34, s14
	s_add_i32 s36, s38, s36
	s_mul_i32 s35, s35, s14
	s_add_i32 s36, s36, s35
	s_mul_i32 s38, s34, s14
	s_ashr_i32 s34, s37, 31
	s_mul_i32 s35, s37, s17
	s_add_i32 s35, s39, s35
	s_mul_i32 s34, s34, s16
	s_add_i32 s39, s35, s34
	;; [unrolled: 2-line block ×3, first 2 shown]
	v_mad_u64_u32 v[6:7], s[34:35], s4, v0, v[4:5]
	v_add_u32_e32 v7, s23, v7
	s_load_dword s23, s[28:29], 0x0
	s_mul_i32 s37, s37, s16
	s_add_u32 s34, s38, s37
	s_addc_u32 s35, s36, s39
	v_lshl_add_u64 v[8:9], v[2:3], 0, s[34:35]
	s_mov_b64 s[34:35], 0
	v_mov_b32_e32 v0, v12
	s_branch .LBB44_13
.LBB44_12:                              ;   in Loop: Header=BB44_13 Depth=2
	s_or_b64 exec, exec, s[36:37]
	v_add_u32_e32 v0, 64, v0
	v_perm_b32 v19, v19, v18, s44
	v_perm_b32 v18, v17, v16, s44
	;; [unrolled: 1-line block ×4, first 2 shown]
	v_cmp_lt_u32_e32 vcc, 7, v0
	global_store_dwordx4 v[6:7], v[16:19], off offset:-14
	v_lshl_add_u64 v[8:9], v[8:9], 0, s[6:7]
	s_or_b64 s[34:35], vcc, s[34:35]
	v_lshl_add_u64 v[6:7], v[6:7], 0, s[18:19]
	s_andn2_b64 exec, exec, s[34:35]
	s_cbranch_execz .LBB44_5
.LBB44_13:                              ;   Parent Loop BB44_7 Depth=1
                                        ; =>  This Inner Loop Header: Depth=2
	global_load_dwordx2 v[10:11], v[8:9], off
	s_waitcnt vmcnt(0)
	v_and_b32_e32 v13, 0xff, v10
	v_cvt_f32_fp8_sdwa v13, v13 src0_sel:BYTE_0
	s_waitcnt lgkmcnt(0)
	v_mul_f32_e32 v14, s23, v13
	v_and_b32_e32 v13, 0x7f800000, v14
	v_cmp_ne_u32_e32 vcc, s42, v13
                                        ; implicit-def: $vgpr13
	s_and_saveexec_b64 s[36:37], vcc
	s_xor_b64 s[36:37], exec, s[36:37]
; %bb.14:                               ;   in Loop: Header=BB44_13 Depth=2
	v_bfe_u32 v13, v14, 16, 1
	v_add3_u32 v13, v14, v13, s43
                                        ; implicit-def: $vgpr14
; %bb.15:                               ;   in Loop: Header=BB44_13 Depth=2
	s_andn2_saveexec_b64 s[36:37], s[36:37]
; %bb.16:                               ;   in Loop: Header=BB44_13 Depth=2
	v_or_b32_e32 v13, 0x10000, v14
	v_cmp_eq_u32_sdwa vcc, v14, v1 src0_sel:WORD_0 src1_sel:DWORD
	s_nop 1
	v_cndmask_b32_e32 v13, v13, v14, vcc
; %bb.17:                               ;   in Loop: Header=BB44_13 Depth=2
	s_or_b64 exec, exec, s[36:37]
	v_bfe_u32 v14, v10, 8, 8
	v_cvt_f32_fp8_sdwa v14, v14 src0_sel:BYTE_0
	s_nop 0
	v_mul_f32_e32 v15, s23, v14
	v_and_b32_e32 v14, 0x7f800000, v15
	v_cmp_ne_u32_e32 vcc, s42, v14
                                        ; implicit-def: $vgpr14
	s_and_saveexec_b64 s[36:37], vcc
	s_xor_b64 s[36:37], exec, s[36:37]
; %bb.18:                               ;   in Loop: Header=BB44_13 Depth=2
	v_bfe_u32 v14, v15, 16, 1
	v_add3_u32 v14, v15, v14, s43
                                        ; implicit-def: $vgpr15
; %bb.19:                               ;   in Loop: Header=BB44_13 Depth=2
	s_andn2_saveexec_b64 s[36:37], s[36:37]
; %bb.20:                               ;   in Loop: Header=BB44_13 Depth=2
	v_or_b32_e32 v14, 0x10000, v15
	v_cmp_eq_u32_sdwa vcc, v15, v1 src0_sel:WORD_0 src1_sel:DWORD
	s_nop 1
	v_cndmask_b32_e32 v14, v14, v15, vcc
; %bb.21:                               ;   in Loop: Header=BB44_13 Depth=2
	s_or_b64 exec, exec, s[36:37]
	v_bfe_u32 v15, v10, 16, 8
	v_cvt_f32_fp8_sdwa v15, v15 src0_sel:BYTE_0
	s_nop 0
	v_mul_f32_e32 v16, s23, v15
	v_and_b32_e32 v15, 0x7f800000, v16
	v_cmp_ne_u32_e32 vcc, s42, v15
                                        ; implicit-def: $vgpr15
	s_and_saveexec_b64 s[36:37], vcc
	s_xor_b64 s[36:37], exec, s[36:37]
; %bb.22:                               ;   in Loop: Header=BB44_13 Depth=2
	v_bfe_u32 v15, v16, 16, 1
	v_add3_u32 v15, v16, v15, s43
                                        ; implicit-def: $vgpr16
; %bb.23:                               ;   in Loop: Header=BB44_13 Depth=2
	s_andn2_saveexec_b64 s[36:37], s[36:37]
; %bb.24:                               ;   in Loop: Header=BB44_13 Depth=2
	v_or_b32_e32 v15, 0x10000, v16
	v_cmp_eq_u32_sdwa vcc, v16, v1 src0_sel:WORD_0 src1_sel:DWORD
	s_nop 1
	v_cndmask_b32_e32 v15, v15, v16, vcc
; %bb.25:                               ;   in Loop: Header=BB44_13 Depth=2
	s_or_b64 exec, exec, s[36:37]
	v_lshrrev_b32_e32 v10, 24, v10
	v_cvt_f32_fp8_sdwa v10, v10 src0_sel:BYTE_0
	s_nop 0
	v_mul_f32_e32 v16, s23, v10
	v_and_b32_e32 v10, 0x7f800000, v16
	v_cmp_ne_u32_e32 vcc, s42, v10
                                        ; implicit-def: $vgpr10
	s_and_saveexec_b64 s[36:37], vcc
	s_xor_b64 s[36:37], exec, s[36:37]
; %bb.26:                               ;   in Loop: Header=BB44_13 Depth=2
	v_bfe_u32 v10, v16, 16, 1
	v_add3_u32 v10, v16, v10, s43
                                        ; implicit-def: $vgpr16
; %bb.27:                               ;   in Loop: Header=BB44_13 Depth=2
	s_andn2_saveexec_b64 s[36:37], s[36:37]
; %bb.28:                               ;   in Loop: Header=BB44_13 Depth=2
	v_or_b32_e32 v10, 0x10000, v16
	v_cmp_eq_u32_sdwa vcc, v16, v1 src0_sel:WORD_0 src1_sel:DWORD
	s_nop 1
	v_cndmask_b32_e32 v10, v10, v16, vcc
; %bb.29:                               ;   in Loop: Header=BB44_13 Depth=2
	s_or_b64 exec, exec, s[36:37]
	v_and_b32_e32 v16, 0xff, v11
	v_cvt_f32_fp8_sdwa v16, v16 src0_sel:BYTE_0
	s_nop 0
	v_mul_f32_e32 v17, s23, v16
	v_and_b32_e32 v16, 0x7f800000, v17
	v_cmp_ne_u32_e32 vcc, s42, v16
                                        ; implicit-def: $vgpr16
	s_and_saveexec_b64 s[36:37], vcc
	s_xor_b64 s[36:37], exec, s[36:37]
; %bb.30:                               ;   in Loop: Header=BB44_13 Depth=2
	v_bfe_u32 v16, v17, 16, 1
	v_add3_u32 v16, v17, v16, s43
                                        ; implicit-def: $vgpr17
; %bb.31:                               ;   in Loop: Header=BB44_13 Depth=2
	s_andn2_saveexec_b64 s[36:37], s[36:37]
; %bb.32:                               ;   in Loop: Header=BB44_13 Depth=2
	v_or_b32_e32 v16, 0x10000, v17
	v_cmp_eq_u32_sdwa vcc, v17, v1 src0_sel:WORD_0 src1_sel:DWORD
	s_nop 1
	v_cndmask_b32_e32 v16, v16, v17, vcc
; %bb.33:                               ;   in Loop: Header=BB44_13 Depth=2
	s_or_b64 exec, exec, s[36:37]
	v_bfe_u32 v17, v11, 8, 8
	v_cvt_f32_fp8_sdwa v17, v17 src0_sel:BYTE_0
	s_nop 0
	v_mul_f32_e32 v18, s23, v17
	v_and_b32_e32 v17, 0x7f800000, v18
	v_cmp_ne_u32_e32 vcc, s42, v17
                                        ; implicit-def: $vgpr17
	s_and_saveexec_b64 s[36:37], vcc
	s_xor_b64 s[36:37], exec, s[36:37]
; %bb.34:                               ;   in Loop: Header=BB44_13 Depth=2
	v_bfe_u32 v17, v18, 16, 1
	v_add3_u32 v17, v18, v17, s43
                                        ; implicit-def: $vgpr18
; %bb.35:                               ;   in Loop: Header=BB44_13 Depth=2
	s_andn2_saveexec_b64 s[36:37], s[36:37]
; %bb.36:                               ;   in Loop: Header=BB44_13 Depth=2
	v_or_b32_e32 v17, 0x10000, v18
	v_cmp_eq_u32_sdwa vcc, v18, v1 src0_sel:WORD_0 src1_sel:DWORD
	s_nop 1
	v_cndmask_b32_e32 v17, v17, v18, vcc
; %bb.37:                               ;   in Loop: Header=BB44_13 Depth=2
	s_or_b64 exec, exec, s[36:37]
	v_bfe_u32 v18, v11, 16, 8
	v_cvt_f32_fp8_sdwa v18, v18 src0_sel:BYTE_0
	s_nop 0
	v_mul_f32_e32 v19, s23, v18
	v_and_b32_e32 v18, 0x7f800000, v19
	v_cmp_ne_u32_e32 vcc, s42, v18
                                        ; implicit-def: $vgpr18
	s_and_saveexec_b64 s[36:37], vcc
	s_xor_b64 s[36:37], exec, s[36:37]
; %bb.38:                               ;   in Loop: Header=BB44_13 Depth=2
	v_bfe_u32 v18, v19, 16, 1
	v_add3_u32 v18, v19, v18, s43
                                        ; implicit-def: $vgpr19
; %bb.39:                               ;   in Loop: Header=BB44_13 Depth=2
	s_andn2_saveexec_b64 s[36:37], s[36:37]
; %bb.40:                               ;   in Loop: Header=BB44_13 Depth=2
	v_or_b32_e32 v18, 0x10000, v19
	v_cmp_eq_u32_sdwa vcc, v19, v1 src0_sel:WORD_0 src1_sel:DWORD
	s_nop 1
	v_cndmask_b32_e32 v18, v18, v19, vcc
; %bb.41:                               ;   in Loop: Header=BB44_13 Depth=2
	s_or_b64 exec, exec, s[36:37]
	v_lshrrev_b32_e32 v11, 24, v11
	v_cvt_f32_fp8_sdwa v11, v11 src0_sel:BYTE_0
	s_nop 0
	v_mul_f32_e32 v11, s23, v11
	v_and_b32_e32 v19, 0x7f800000, v11
	v_cmp_ne_u32_e32 vcc, s42, v19
                                        ; implicit-def: $vgpr19
	s_and_saveexec_b64 s[36:37], vcc
	s_xor_b64 s[36:37], exec, s[36:37]
; %bb.42:                               ;   in Loop: Header=BB44_13 Depth=2
	v_bfe_u32 v19, v11, 16, 1
	v_add3_u32 v19, v11, v19, s43
                                        ; implicit-def: $vgpr11
; %bb.43:                               ;   in Loop: Header=BB44_13 Depth=2
	s_andn2_saveexec_b64 s[36:37], s[36:37]
	s_cbranch_execz .LBB44_12
; %bb.44:                               ;   in Loop: Header=BB44_13 Depth=2
	v_or_b32_e32 v19, 0x10000, v11
	v_cmp_eq_u32_sdwa vcc, v11, v1 src0_sel:WORD_0 src1_sel:DWORD
	s_nop 1
	v_cndmask_b32_e32 v19, v19, v11, vcc
	s_branch .LBB44_12
.LBB44_45:
	s_endpgm
	.section	.rodata,"a",@progbits
	.p2align	6, 0x0
	.amdhsa_kernel _ZN4vllm30gather_and_maybe_dequant_cacheI14__hip_bfloat16hLNS_18Fp8KVCacheDataTypeE1ELi576ELi64EEEvPKT0_PT_PKiS9_S9_iillllPKfS9_
		.amdhsa_group_segment_fixed_size 0
		.amdhsa_private_segment_fixed_size 64
		.amdhsa_kernarg_size 352
		.amdhsa_user_sgpr_count 2
		.amdhsa_user_sgpr_dispatch_ptr 0
		.amdhsa_user_sgpr_queue_ptr 0
		.amdhsa_user_sgpr_kernarg_segment_ptr 1
		.amdhsa_user_sgpr_dispatch_id 0
		.amdhsa_user_sgpr_kernarg_preload_length 0
		.amdhsa_user_sgpr_kernarg_preload_offset 0
		.amdhsa_user_sgpr_private_segment_size 0
		.amdhsa_uses_dynamic_stack 0
		.amdhsa_enable_private_segment 1
		.amdhsa_system_sgpr_workgroup_id_x 1
		.amdhsa_system_sgpr_workgroup_id_y 0
		.amdhsa_system_sgpr_workgroup_id_z 0
		.amdhsa_system_sgpr_workgroup_info 0
		.amdhsa_system_vgpr_workitem_id 0
		.amdhsa_next_free_vgpr 53
		.amdhsa_next_free_sgpr 46
		.amdhsa_accum_offset 56
		.amdhsa_reserve_vcc 1
		.amdhsa_float_round_mode_32 0
		.amdhsa_float_round_mode_16_64 0
		.amdhsa_float_denorm_mode_32 3
		.amdhsa_float_denorm_mode_16_64 3
		.amdhsa_dx10_clamp 1
		.amdhsa_ieee_mode 1
		.amdhsa_fp16_overflow 0
		.amdhsa_tg_split 0
		.amdhsa_exception_fp_ieee_invalid_op 0
		.amdhsa_exception_fp_denorm_src 0
		.amdhsa_exception_fp_ieee_div_zero 0
		.amdhsa_exception_fp_ieee_overflow 0
		.amdhsa_exception_fp_ieee_underflow 0
		.amdhsa_exception_fp_ieee_inexact 0
		.amdhsa_exception_int_div_zero 0
	.end_amdhsa_kernel
	.section	.text._ZN4vllm30gather_and_maybe_dequant_cacheI14__hip_bfloat16hLNS_18Fp8KVCacheDataTypeE1ELi576ELi64EEEvPKT0_PT_PKiS9_S9_iillllPKfS9_,"axG",@progbits,_ZN4vllm30gather_and_maybe_dequant_cacheI14__hip_bfloat16hLNS_18Fp8KVCacheDataTypeE1ELi576ELi64EEEvPKT0_PT_PKiS9_S9_iillllPKfS9_,comdat
.Lfunc_end44:
	.size	_ZN4vllm30gather_and_maybe_dequant_cacheI14__hip_bfloat16hLNS_18Fp8KVCacheDataTypeE1ELi576ELi64EEEvPKT0_PT_PKiS9_S9_iillllPKfS9_, .Lfunc_end44-_ZN4vllm30gather_and_maybe_dequant_cacheI14__hip_bfloat16hLNS_18Fp8KVCacheDataTypeE1ELi576ELi64EEEvPKT0_PT_PKiS9_S9_iillllPKfS9_
                                        ; -- End function
	.section	.AMDGPU.csdata,"",@progbits
; Kernel info:
; codeLenInByte = 1640
; NumSgprs: 52
; NumVgprs: 53
; NumAgprs: 0
; TotalNumVgprs: 53
; ScratchSize: 64
; MemoryBound: 0
; FloatMode: 240
; IeeeMode: 1
; LDSByteSize: 0 bytes/workgroup (compile time only)
; SGPRBlocks: 6
; VGPRBlocks: 6
; NumSGPRsForWavesPerEU: 52
; NumVGPRsForWavesPerEU: 53
; AccumOffset: 56
; Occupancy: 8
; WaveLimiterHint : 1
; COMPUTE_PGM_RSRC2:SCRATCH_EN: 1
; COMPUTE_PGM_RSRC2:USER_SGPR: 2
; COMPUTE_PGM_RSRC2:TRAP_HANDLER: 0
; COMPUTE_PGM_RSRC2:TGID_X_EN: 1
; COMPUTE_PGM_RSRC2:TGID_Y_EN: 0
; COMPUTE_PGM_RSRC2:TGID_Z_EN: 0
; COMPUTE_PGM_RSRC2:TIDIG_COMP_CNT: 0
; COMPUTE_PGM_RSRC3_GFX90A:ACCUM_OFFSET: 13
; COMPUTE_PGM_RSRC3_GFX90A:TG_SPLIT: 0
	.section	.text._ZN4vllm30gather_and_maybe_dequant_cacheIffLNS_18Fp8KVCacheDataTypeE0ELi320ELi64EEEvPKT0_PT_PKiS8_S8_iillllPKfS8_,"axG",@progbits,_ZN4vllm30gather_and_maybe_dequant_cacheIffLNS_18Fp8KVCacheDataTypeE0ELi320ELi64EEEvPKT0_PT_PKiS8_S8_iillllPKfS8_,comdat
	.protected	_ZN4vllm30gather_and_maybe_dequant_cacheIffLNS_18Fp8KVCacheDataTypeE0ELi320ELi64EEEvPKT0_PT_PKiS8_S8_iillllPKfS8_ ; -- Begin function _ZN4vllm30gather_and_maybe_dequant_cacheIffLNS_18Fp8KVCacheDataTypeE0ELi320ELi64EEEvPKT0_PT_PKiS8_S8_iillllPKfS8_
	.globl	_ZN4vllm30gather_and_maybe_dequant_cacheIffLNS_18Fp8KVCacheDataTypeE0ELi320ELi64EEEvPKT0_PT_PKiS8_S8_iillllPKfS8_
	.p2align	8
	.type	_ZN4vllm30gather_and_maybe_dequant_cacheIffLNS_18Fp8KVCacheDataTypeE0ELi320ELi64EEEvPKT0_PT_PKiS8_S8_iillllPKfS8_,@function
_ZN4vllm30gather_and_maybe_dequant_cacheIffLNS_18Fp8KVCacheDataTypeE0ELi320ELi64EEEvPKT0_PT_PKiS8_S8_iillllPKfS8_: ; @_ZN4vllm30gather_and_maybe_dequant_cacheIffLNS_18Fp8KVCacheDataTypeE0ELi320ELi64EEEvPKT0_PT_PKiS8_S8_iillllPKfS8_
; %bb.0:
	s_mov_b64 s[24:25], s[0:1]
	s_load_dword s0, s[0:1], 0x6c
	s_mov_b32 s22, s2
	s_add_u32 s34, s24, 0x60
	v_mov_b32_e32 v41, v0
	s_addc_u32 s35, s25, 0
	s_waitcnt lgkmcnt(0)
	v_cmp_eq_u16_e64 s[2:3], s0, 64
	s_mov_b64 s[0:1], -1
	s_and_b64 vcc, exec, s[2:3]
	s_mov_b32 s32, 0
	s_cbranch_vccnz .LBB45_2
; %bb.1:
	s_add_u32 s8, s24, 0x60
	s_addc_u32 s9, s25, 0
	s_getpc_b64 s[0:1]
	s_add_u32 s0, s0, .str.2@rel32@lo+4
	s_addc_u32 s1, s1, .str.2@rel32@hi+12
	s_getpc_b64 s[2:3]
	s_add_u32 s2, s2, .str.3@rel32@lo+4
	s_addc_u32 s3, s3, .str.3@rel32@hi+12
	s_getpc_b64 s[4:5]
	s_add_u32 s4, s4, __PRETTY_FUNCTION__._ZN4vllm30gather_and_maybe_dequant_cacheIffLNS_18Fp8KVCacheDataTypeE0ELi320ELi64EEEvPKT0_PT_PKiS8_S8_iillllPKfS8_@rel32@lo+4
	s_addc_u32 s5, s5, __PRETTY_FUNCTION__._ZN4vllm30gather_and_maybe_dequant_cacheIffLNS_18Fp8KVCacheDataTypeE0ELi320ELi64EEEvPKT0_PT_PKiS8_S8_iillllPKfS8_@rel32@hi+12
	v_mov_b32_e32 v0, s0
	v_mov_b32_e32 v1, s1
	;; [unrolled: 1-line block ×7, first 2 shown]
	s_getpc_b64 s[6:7]
	s_add_u32 s6, s6, __assert_fail@rel32@lo+4
	s_addc_u32 s7, s7, __assert_fail@rel32@hi+12
	s_swappc_b64 s[30:31], s[6:7]
	s_mov_b64 s[0:1], 0
	; divergent unreachable
.LBB45_2:
	s_andn2_b64 vcc, exec, s[0:1]
	s_cbranch_vccnz .LBB45_13
; %bb.3:
	s_load_dwordx2 s[20:21], s[24:25], 0x28
	s_waitcnt lgkmcnt(0)
	s_cmp_ge_i32 s22, s20
	s_cbranch_scc1 .LBB45_13
; %bb.4:
	s_load_dwordx2 s[26:27], s[24:25], 0x58
	s_load_dwordx8 s[4:11], s[24:25], 0x0
	s_load_dwordx2 s[28:29], s[24:25], 0x20
	s_load_dword s33, s[34:35], 0x0
	s_load_dwordx8 s[12:19], s[24:25], 0x30
	s_waitcnt lgkmcnt(0)
	s_cmp_lg_u64 s[26:27], 0
	s_cselect_b64 s[2:3], -1, 0
	s_abs_i32 s36, s21
	v_cvt_f32_u32_e32 v0, s36
	v_lshlrev_b32_e32 v2, 4, v41
	v_mov_b32_e32 v3, 0
	s_movk_i32 s0, 0x50
	v_rcp_iflag_f32_e32 v0, v0
	v_subrev_u32_e32 v8, 64, v41
	v_cmp_gt_u32_e64 s[0:1], s0, v41
	s_ashr_i32 s13, s21, 31
	v_mul_f32_e32 v0, 0x4f7ffffe, v0
	v_cvt_u32_f32_e32 v4, v0
	v_lshl_add_u64 v[0:1], s[4:5], 0, v[2:3]
	s_sub_i32 s4, 0, s36
	v_lshl_add_u64 v[2:3], s[6:7], 0, v[2:3]
	v_readfirstlane_b32 s5, v4
	s_mul_i32 s4, s4, s5
	s_mul_hi_u32 s4, s5, s4
	v_cndmask_b32_e64 v4, 0, 1, s[2:3]
	s_add_i32 s37, s5, s4
	s_lshl_b64 s[4:5], s[14:15], 2
	s_lshl_b64 s[14:15], s[16:17], 2
	s_lshl_b64 s[6:7], s[18:19], 2
	v_cmp_ne_u32_e64 s[2:3], 1, v4
	s_mov_b64 s[16:17], 0x400
	s_branch .LBB45_7
.LBB45_5:                               ;   in Loop: Header=BB45_7 Depth=1
	s_or_b64 exec, exec, s[18:19]
	s_add_i32 s22, s22, s33
	s_cmp_ge_i32 s22, s20
	s_cselect_b64 s[34:35], -1, 0
.LBB45_6:                               ;   in Loop: Header=BB45_7 Depth=1
	s_and_b64 vcc, exec, s[34:35]
	s_cbranch_vccnz .LBB45_13
.LBB45_7:                               ; =>This Loop Header: Depth=1
                                        ;     Child Loop BB45_12 Depth 2
	s_ashr_i32 s23, s22, 31
	s_lshl_b64 s[18:19], s[22:23], 2
	s_add_u32 s18, s28, s18
	s_addc_u32 s19, s29, s19
	s_load_dword s24, s[18:19], 0x0
	s_mov_b64 s[34:35], -1
	s_waitcnt lgkmcnt(0)
	s_ashr_i32 s25, s24, 31
	s_lshl_b64 s[18:19], s[24:25], 2
	s_add_u32 s30, s10, s18
	s_addc_u32 s31, s11, s19
	s_load_dwordx2 s[30:31], s[30:31], 0x0
	s_waitcnt lgkmcnt(0)
	s_cmp_ge_i32 s22, s31
	s_cbranch_scc1 .LBB45_6
; %bb.8:                                ;   in Loop: Header=BB45_7 Depth=1
	s_and_b64 vcc, exec, s[2:3]
	s_cbranch_vccnz .LBB45_10
; %bb.9:                                ;   in Loop: Header=BB45_7 Depth=1
	s_add_u32 s18, s26, s18
	s_addc_u32 s19, s27, s19
	s_load_dword s25, s[18:19], 0x0
	s_and_saveexec_b64 s[18:19], s[0:1]
	s_cbranch_execz .LBB45_5
	s_branch .LBB45_11
.LBB45_10:                              ;   in Loop: Header=BB45_7 Depth=1
	s_mov_b32 s25, 0
	s_and_saveexec_b64 s[18:19], s[0:1]
	s_cbranch_execz .LBB45_5
.LBB45_11:                              ;   in Loop: Header=BB45_7 Depth=1
	s_sub_i32 s30, s22, s30
	s_waitcnt lgkmcnt(0)
	s_add_i32 s25, s25, s30
	s_abs_i32 s31, s25
	s_mul_hi_u32 s34, s31, s37
	s_mul_i32 s35, s34, s36
	s_ashr_i32 s30, s25, 31
	s_sub_i32 s31, s31, s35
	s_xor_b32 s30, s30, s13
	s_add_i32 s35, s34, 1
	s_sub_i32 s38, s31, s36
	s_cmp_ge_u32 s31, s36
	s_cselect_b32 s34, s35, s34
	s_cselect_b32 s31, s38, s31
	s_add_i32 s35, s34, 1
	s_cmp_ge_u32 s31, s36
	s_cselect_b32 s31, s35, s34
	s_xor_b32 s31, s31, s30
	s_sub_i32 s30, s31, s30
	s_mul_i32 s24, s24, s12
	s_mul_i32 s31, s30, s21
	s_add_i32 s24, s30, s24
	s_sub_i32 s31, s25, s31
	s_ashr_i32 s25, s24, 31
	s_lshl_b64 s[24:25], s[24:25], 2
	s_add_u32 s24, s8, s24
	s_addc_u32 s25, s9, s25
	s_load_dword s30, s[24:25], 0x0
	s_mul_i32 s24, s7, s22
	s_mul_i32 s23, s6, s23
	v_mov_b32_e32 v4, s22
	s_add_i32 s23, s23, s24
	s_waitcnt lgkmcnt(0)
	s_ashr_i32 s34, s30, 31
	v_mad_u64_u32 v[4:5], s[24:25], s6, v4, v[2:3]
	v_add_u32_e32 v5, s23, v5
	s_mul_i32 s23, s4, s34
	s_mul_hi_u32 s24, s4, s30
	s_ashr_i32 s35, s31, 31
	s_add_i32 s23, s24, s23
	s_mul_i32 s24, s5, s30
	s_add_i32 s23, s23, s24
	s_mul_i32 s24, s4, s30
	s_mul_i32 s25, s14, s35
	s_mul_hi_u32 s30, s14, s31
	s_add_i32 s25, s30, s25
	s_mul_i32 s30, s15, s31
	s_add_i32 s25, s25, s30
	s_mul_i32 s30, s14, s31
	s_add_u32 s24, s24, s30
	s_addc_u32 s25, s23, s25
	v_lshl_add_u64 v[6:7], v[0:1], 0, s[24:25]
	s_mov_b64 s[24:25], 0
	v_mov_b32_e32 v9, v8
.LBB45_12:                              ;   Parent Loop BB45_7 Depth=1
                                        ; =>  This Inner Loop Header: Depth=2
	global_load_dwordx4 v[10:13], v[6:7], off
	v_add_u32_e32 v9, 64, v9
	v_cmp_lt_u32_e32 vcc, 15, v9
	v_lshl_add_u64 v[6:7], v[6:7], 0, s[16:17]
	s_or_b64 s[24:25], vcc, s[24:25]
	s_waitcnt vmcnt(0)
	global_store_dwordx4 v[4:5], v[10:13], off
	v_lshl_add_u64 v[4:5], v[4:5], 0, s[16:17]
	s_andn2_b64 exec, exec, s[24:25]
	s_cbranch_execnz .LBB45_12
	s_branch .LBB45_5
.LBB45_13:
	s_endpgm
	.section	.rodata,"a",@progbits
	.p2align	6, 0x0
	.amdhsa_kernel _ZN4vllm30gather_and_maybe_dequant_cacheIffLNS_18Fp8KVCacheDataTypeE0ELi320ELi64EEEvPKT0_PT_PKiS8_S8_iillllPKfS8_
		.amdhsa_group_segment_fixed_size 0
		.amdhsa_private_segment_fixed_size 64
		.amdhsa_kernarg_size 352
		.amdhsa_user_sgpr_count 2
		.amdhsa_user_sgpr_dispatch_ptr 0
		.amdhsa_user_sgpr_queue_ptr 0
		.amdhsa_user_sgpr_kernarg_segment_ptr 1
		.amdhsa_user_sgpr_dispatch_id 0
		.amdhsa_user_sgpr_kernarg_preload_length 0
		.amdhsa_user_sgpr_kernarg_preload_offset 0
		.amdhsa_user_sgpr_private_segment_size 0
		.amdhsa_uses_dynamic_stack 0
		.amdhsa_enable_private_segment 1
		.amdhsa_system_sgpr_workgroup_id_x 1
		.amdhsa_system_sgpr_workgroup_id_y 0
		.amdhsa_system_sgpr_workgroup_id_z 0
		.amdhsa_system_sgpr_workgroup_info 0
		.amdhsa_system_vgpr_workitem_id 0
		.amdhsa_next_free_vgpr 53
		.amdhsa_next_free_sgpr 39
		.amdhsa_accum_offset 56
		.amdhsa_reserve_vcc 1
		.amdhsa_float_round_mode_32 0
		.amdhsa_float_round_mode_16_64 0
		.amdhsa_float_denorm_mode_32 3
		.amdhsa_float_denorm_mode_16_64 3
		.amdhsa_dx10_clamp 1
		.amdhsa_ieee_mode 1
		.amdhsa_fp16_overflow 0
		.amdhsa_tg_split 0
		.amdhsa_exception_fp_ieee_invalid_op 0
		.amdhsa_exception_fp_denorm_src 0
		.amdhsa_exception_fp_ieee_div_zero 0
		.amdhsa_exception_fp_ieee_overflow 0
		.amdhsa_exception_fp_ieee_underflow 0
		.amdhsa_exception_fp_ieee_inexact 0
		.amdhsa_exception_int_div_zero 0
	.end_amdhsa_kernel
	.section	.text._ZN4vllm30gather_and_maybe_dequant_cacheIffLNS_18Fp8KVCacheDataTypeE0ELi320ELi64EEEvPKT0_PT_PKiS8_S8_iillllPKfS8_,"axG",@progbits,_ZN4vllm30gather_and_maybe_dequant_cacheIffLNS_18Fp8KVCacheDataTypeE0ELi320ELi64EEEvPKT0_PT_PKiS8_S8_iillllPKfS8_,comdat
.Lfunc_end45:
	.size	_ZN4vllm30gather_and_maybe_dequant_cacheIffLNS_18Fp8KVCacheDataTypeE0ELi320ELi64EEEvPKT0_PT_PKiS8_S8_iillllPKfS8_, .Lfunc_end45-_ZN4vllm30gather_and_maybe_dequant_cacheIffLNS_18Fp8KVCacheDataTypeE0ELi320ELi64EEEvPKT0_PT_PKiS8_S8_iillllPKfS8_
                                        ; -- End function
	.section	.AMDGPU.csdata,"",@progbits
; Kernel info:
; codeLenInByte = 832
; NumSgprs: 45
; NumVgprs: 53
; NumAgprs: 0
; TotalNumVgprs: 53
; ScratchSize: 64
; MemoryBound: 0
; FloatMode: 240
; IeeeMode: 1
; LDSByteSize: 0 bytes/workgroup (compile time only)
; SGPRBlocks: 5
; VGPRBlocks: 6
; NumSGPRsForWavesPerEU: 45
; NumVGPRsForWavesPerEU: 53
; AccumOffset: 56
; Occupancy: 8
; WaveLimiterHint : 1
; COMPUTE_PGM_RSRC2:SCRATCH_EN: 1
; COMPUTE_PGM_RSRC2:USER_SGPR: 2
; COMPUTE_PGM_RSRC2:TRAP_HANDLER: 0
; COMPUTE_PGM_RSRC2:TGID_X_EN: 1
; COMPUTE_PGM_RSRC2:TGID_Y_EN: 0
; COMPUTE_PGM_RSRC2:TGID_Z_EN: 0
; COMPUTE_PGM_RSRC2:TIDIG_COMP_CNT: 0
; COMPUTE_PGM_RSRC3_GFX90A:ACCUM_OFFSET: 13
; COMPUTE_PGM_RSRC3_GFX90A:TG_SPLIT: 0
	.section	.text._ZN4vllm30gather_and_maybe_dequant_cacheIttLNS_18Fp8KVCacheDataTypeE0ELi320ELi64EEEvPKT0_PT_PKiS8_S8_iillllPKfS8_,"axG",@progbits,_ZN4vllm30gather_and_maybe_dequant_cacheIttLNS_18Fp8KVCacheDataTypeE0ELi320ELi64EEEvPKT0_PT_PKiS8_S8_iillllPKfS8_,comdat
	.protected	_ZN4vllm30gather_and_maybe_dequant_cacheIttLNS_18Fp8KVCacheDataTypeE0ELi320ELi64EEEvPKT0_PT_PKiS8_S8_iillllPKfS8_ ; -- Begin function _ZN4vllm30gather_and_maybe_dequant_cacheIttLNS_18Fp8KVCacheDataTypeE0ELi320ELi64EEEvPKT0_PT_PKiS8_S8_iillllPKfS8_
	.globl	_ZN4vllm30gather_and_maybe_dequant_cacheIttLNS_18Fp8KVCacheDataTypeE0ELi320ELi64EEEvPKT0_PT_PKiS8_S8_iillllPKfS8_
	.p2align	8
	.type	_ZN4vllm30gather_and_maybe_dequant_cacheIttLNS_18Fp8KVCacheDataTypeE0ELi320ELi64EEEvPKT0_PT_PKiS8_S8_iillllPKfS8_,@function
_ZN4vllm30gather_and_maybe_dequant_cacheIttLNS_18Fp8KVCacheDataTypeE0ELi320ELi64EEEvPKT0_PT_PKiS8_S8_iillllPKfS8_: ; @_ZN4vllm30gather_and_maybe_dequant_cacheIttLNS_18Fp8KVCacheDataTypeE0ELi320ELi64EEEvPKT0_PT_PKiS8_S8_iillllPKfS8_
; %bb.0:
	s_mov_b64 s[24:25], s[0:1]
	s_load_dword s0, s[0:1], 0x6c
	s_mov_b32 s22, s2
	s_add_u32 s34, s24, 0x60
	v_mov_b32_e32 v42, v0
	s_addc_u32 s35, s25, 0
	s_waitcnt lgkmcnt(0)
	v_cmp_eq_u16_e64 s[2:3], s0, 64
	s_mov_b64 s[0:1], -1
	s_and_b64 vcc, exec, s[2:3]
	s_mov_b32 s32, 0
	s_cbranch_vccnz .LBB46_2
; %bb.1:
	s_add_u32 s8, s24, 0x60
	s_addc_u32 s9, s25, 0
	s_getpc_b64 s[0:1]
	s_add_u32 s0, s0, .str.2@rel32@lo+4
	s_addc_u32 s1, s1, .str.2@rel32@hi+12
	s_getpc_b64 s[2:3]
	s_add_u32 s2, s2, .str.3@rel32@lo+4
	s_addc_u32 s3, s3, .str.3@rel32@hi+12
	s_getpc_b64 s[4:5]
	s_add_u32 s4, s4, __PRETTY_FUNCTION__._ZN4vllm30gather_and_maybe_dequant_cacheIttLNS_18Fp8KVCacheDataTypeE0ELi320ELi64EEEvPKT0_PT_PKiS8_S8_iillllPKfS8_@rel32@lo+4
	s_addc_u32 s5, s5, __PRETTY_FUNCTION__._ZN4vllm30gather_and_maybe_dequant_cacheIttLNS_18Fp8KVCacheDataTypeE0ELi320ELi64EEEvPKT0_PT_PKiS8_S8_iillllPKfS8_@rel32@hi+12
	v_mov_b32_e32 v0, s0
	v_mov_b32_e32 v1, s1
	;; [unrolled: 1-line block ×7, first 2 shown]
	s_getpc_b64 s[6:7]
	s_add_u32 s6, s6, __assert_fail@rel32@lo+4
	s_addc_u32 s7, s7, __assert_fail@rel32@hi+12
	s_swappc_b64 s[30:31], s[6:7]
	s_mov_b64 s[0:1], 0
	; divergent unreachable
.LBB46_2:
	s_andn2_b64 vcc, exec, s[0:1]
	s_cbranch_vccnz .LBB46_12
; %bb.3:
	s_load_dwordx2 s[20:21], s[24:25], 0x28
	s_waitcnt lgkmcnt(0)
	s_cmp_ge_i32 s22, s20
	s_cbranch_scc1 .LBB46_12
; %bb.4:
	s_load_dwordx2 s[26:27], s[24:25], 0x58
	s_load_dwordx8 s[4:11], s[24:25], 0x0
	s_load_dwordx2 s[28:29], s[24:25], 0x20
	s_load_dword s33, s[34:35], 0x0
	s_load_dwordx8 s[12:19], s[24:25], 0x30
	s_waitcnt lgkmcnt(0)
	s_cmp_lg_u64 s[26:27], 0
	s_cselect_b64 s[2:3], -1, 0
	s_abs_i32 s36, s21
	v_cvt_f32_u32_e32 v0, s36
	v_mov_b32_e32 v1, 0
	v_cndmask_b32_e64 v3, 0, 1, s[2:3]
	v_cmp_gt_u32_e64 s[0:1], 40, v42
	v_rcp_iflag_f32_e32 v2, v0
	v_lshlrev_b32_e32 v0, 4, v42
	v_lshl_add_u64 v[0:1], s[6:7], 0, v[0:1]
	s_sub_i32 s6, 0, s36
	v_mul_f32_e32 v2, 0x4f7ffffe, v2
	v_cvt_u32_f32_e32 v2, v2
	s_ashr_i32 s13, s21, 31
	v_cmp_ne_u32_e64 s[2:3], 1, v3
	v_readfirstlane_b32 s7, v2
	s_mul_i32 s6, s6, s7
	s_mul_hi_u32 s6, s7, s6
	s_add_i32 s37, s7, s6
	v_lshlrev_b32_e32 v2, 4, v42
	s_branch .LBB46_7
.LBB46_5:                               ;   in Loop: Header=BB46_7 Depth=1
	s_or_b64 exec, exec, s[6:7]
	s_add_i32 s22, s22, s33
	s_cmp_ge_i32 s22, s20
	s_cselect_b64 s[34:35], -1, 0
.LBB46_6:                               ;   in Loop: Header=BB46_7 Depth=1
	s_and_b64 vcc, exec, s[34:35]
	s_cbranch_vccnz .LBB46_12
.LBB46_7:                               ; =>This Inner Loop Header: Depth=1
	s_ashr_i32 s23, s22, 31
	s_lshl_b64 s[6:7], s[22:23], 2
	s_add_u32 s6, s28, s6
	s_addc_u32 s7, s29, s7
	s_load_dword s24, s[6:7], 0x0
	s_mov_b64 s[34:35], -1
	s_waitcnt lgkmcnt(0)
	s_ashr_i32 s25, s24, 31
	s_lshl_b64 s[6:7], s[24:25], 2
	s_add_u32 s30, s10, s6
	s_addc_u32 s31, s11, s7
	s_load_dwordx2 s[30:31], s[30:31], 0x0
	s_waitcnt lgkmcnt(0)
	s_cmp_ge_i32 s22, s31
	s_cbranch_scc1 .LBB46_6
; %bb.8:                                ;   in Loop: Header=BB46_7 Depth=1
	s_and_b64 vcc, exec, s[2:3]
	s_cbranch_vccnz .LBB46_10
; %bb.9:                                ;   in Loop: Header=BB46_7 Depth=1
	s_add_u32 s6, s26, s6
	s_addc_u32 s7, s27, s7
	s_load_dword s25, s[6:7], 0x0
	s_and_saveexec_b64 s[6:7], s[0:1]
	s_cbranch_execz .LBB46_5
	s_branch .LBB46_11
.LBB46_10:                              ;   in Loop: Header=BB46_7 Depth=1
	s_mov_b32 s25, 0
	s_and_saveexec_b64 s[6:7], s[0:1]
	s_cbranch_execz .LBB46_5
.LBB46_11:                              ;   in Loop: Header=BB46_7 Depth=1
	s_waitcnt lgkmcnt(0)
	s_sub_i32 s25, s25, s30
	s_add_i32 s30, s22, s25
	s_abs_i32 s31, s30
	s_mul_hi_u32 s34, s31, s37
	s_mul_i32 s35, s34, s36
	s_ashr_i32 s25, s30, 31
	s_sub_i32 s31, s31, s35
	s_xor_b32 s25, s25, s13
	s_add_i32 s35, s34, 1
	s_sub_i32 s38, s31, s36
	s_cmp_ge_u32 s31, s36
	s_cselect_b32 s34, s35, s34
	s_cselect_b32 s31, s38, s31
	s_add_i32 s35, s34, 1
	s_cmp_ge_u32 s31, s36
	s_cselect_b32 s31, s35, s34
	s_xor_b32 s31, s31, s25
	s_sub_i32 s31, s31, s25
	s_mul_i32 s24, s24, s12
	s_add_i32 s24, s31, s24
	s_ashr_i32 s25, s24, 31
	s_lshl_b64 s[24:25], s[24:25], 2
	s_add_u32 s24, s8, s24
	s_addc_u32 s25, s9, s25
	s_load_dword s24, s[24:25], 0x0
	s_mul_i32 s31, s31, s21
	s_mul_i32 s23, s23, s18
	s_waitcnt lgkmcnt(0)
	s_ashr_i32 s25, s24, 31
	s_mul_i32 s34, s24, s15
	s_mul_hi_u32 s35, s24, s14
	s_add_i32 s34, s35, s34
	s_mul_i32 s25, s25, s14
	s_add_i32 s25, s34, s25
	s_mul_i32 s24, s24, s14
	s_lshl_b64 s[24:25], s[24:25], 1
	s_add_u32 s34, s4, s24
	s_addc_u32 s35, s5, s25
	s_sub_i32 s24, s30, s31
	s_ashr_i32 s25, s24, 31
	s_mul_i32 s30, s24, s17
	s_mul_hi_u32 s31, s24, s16
	s_add_i32 s30, s31, s30
	s_mul_i32 s25, s25, s16
	s_add_i32 s25, s30, s25
	s_mul_i32 s24, s24, s16
	s_lshl_b64 s[24:25], s[24:25], 1
	s_add_u32 s24, s34, s24
	s_addc_u32 s25, s35, s25
	global_load_dwordx4 v[4:7], v2, s[24:25]
	s_mul_i32 s24, s22, s19
	s_mul_hi_u32 s25, s22, s18
	s_add_i32 s24, s25, s24
	s_add_i32 s25, s24, s23
	s_mul_i32 s24, s22, s18
	v_lshl_add_u64 v[8:9], s[24:25], 1, v[0:1]
	s_waitcnt vmcnt(0)
	global_store_dwordx4 v[8:9], v[4:7], off
	s_branch .LBB46_5
.LBB46_12:
	s_endpgm
	.section	.rodata,"a",@progbits
	.p2align	6, 0x0
	.amdhsa_kernel _ZN4vllm30gather_and_maybe_dequant_cacheIttLNS_18Fp8KVCacheDataTypeE0ELi320ELi64EEEvPKT0_PT_PKiS8_S8_iillllPKfS8_
		.amdhsa_group_segment_fixed_size 0
		.amdhsa_private_segment_fixed_size 64
		.amdhsa_kernarg_size 352
		.amdhsa_user_sgpr_count 2
		.amdhsa_user_sgpr_dispatch_ptr 0
		.amdhsa_user_sgpr_queue_ptr 0
		.amdhsa_user_sgpr_kernarg_segment_ptr 1
		.amdhsa_user_sgpr_dispatch_id 0
		.amdhsa_user_sgpr_kernarg_preload_length 0
		.amdhsa_user_sgpr_kernarg_preload_offset 0
		.amdhsa_user_sgpr_private_segment_size 0
		.amdhsa_uses_dynamic_stack 0
		.amdhsa_enable_private_segment 1
		.amdhsa_system_sgpr_workgroup_id_x 1
		.amdhsa_system_sgpr_workgroup_id_y 0
		.amdhsa_system_sgpr_workgroup_id_z 0
		.amdhsa_system_sgpr_workgroup_info 0
		.amdhsa_system_vgpr_workitem_id 0
		.amdhsa_next_free_vgpr 53
		.amdhsa_next_free_sgpr 39
		.amdhsa_accum_offset 56
		.amdhsa_reserve_vcc 1
		.amdhsa_float_round_mode_32 0
		.amdhsa_float_round_mode_16_64 0
		.amdhsa_float_denorm_mode_32 3
		.amdhsa_float_denorm_mode_16_64 3
		.amdhsa_dx10_clamp 1
		.amdhsa_ieee_mode 1
		.amdhsa_fp16_overflow 0
		.amdhsa_tg_split 0
		.amdhsa_exception_fp_ieee_invalid_op 0
		.amdhsa_exception_fp_denorm_src 0
		.amdhsa_exception_fp_ieee_div_zero 0
		.amdhsa_exception_fp_ieee_overflow 0
		.amdhsa_exception_fp_ieee_underflow 0
		.amdhsa_exception_fp_ieee_inexact 0
		.amdhsa_exception_int_div_zero 0
	.end_amdhsa_kernel
	.section	.text._ZN4vllm30gather_and_maybe_dequant_cacheIttLNS_18Fp8KVCacheDataTypeE0ELi320ELi64EEEvPKT0_PT_PKiS8_S8_iillllPKfS8_,"axG",@progbits,_ZN4vllm30gather_and_maybe_dequant_cacheIttLNS_18Fp8KVCacheDataTypeE0ELi320ELi64EEEvPKT0_PT_PKiS8_S8_iillllPKfS8_,comdat
.Lfunc_end46:
	.size	_ZN4vllm30gather_and_maybe_dequant_cacheIttLNS_18Fp8KVCacheDataTypeE0ELi320ELi64EEEvPKT0_PT_PKiS8_S8_iillllPKfS8_, .Lfunc_end46-_ZN4vllm30gather_and_maybe_dequant_cacheIttLNS_18Fp8KVCacheDataTypeE0ELi320ELi64EEEvPKT0_PT_PKiS8_S8_iillllPKfS8_
                                        ; -- End function
	.section	.AMDGPU.csdata,"",@progbits
; Kernel info:
; codeLenInByte = 768
; NumSgprs: 45
; NumVgprs: 53
; NumAgprs: 0
; TotalNumVgprs: 53
; ScratchSize: 64
; MemoryBound: 0
; FloatMode: 240
; IeeeMode: 1
; LDSByteSize: 0 bytes/workgroup (compile time only)
; SGPRBlocks: 5
; VGPRBlocks: 6
; NumSGPRsForWavesPerEU: 45
; NumVGPRsForWavesPerEU: 53
; AccumOffset: 56
; Occupancy: 8
; WaveLimiterHint : 1
; COMPUTE_PGM_RSRC2:SCRATCH_EN: 1
; COMPUTE_PGM_RSRC2:USER_SGPR: 2
; COMPUTE_PGM_RSRC2:TRAP_HANDLER: 0
; COMPUTE_PGM_RSRC2:TGID_X_EN: 1
; COMPUTE_PGM_RSRC2:TGID_Y_EN: 0
; COMPUTE_PGM_RSRC2:TGID_Z_EN: 0
; COMPUTE_PGM_RSRC2:TIDIG_COMP_CNT: 0
; COMPUTE_PGM_RSRC3_GFX90A:ACCUM_OFFSET: 13
; COMPUTE_PGM_RSRC3_GFX90A:TG_SPLIT: 0
	.section	.text._ZN4vllm30gather_and_maybe_dequant_cacheI14__hip_bfloat16S1_LNS_18Fp8KVCacheDataTypeE0ELi320ELi64EEEvPKT0_PT_PKiS9_S9_iillllPKfS9_,"axG",@progbits,_ZN4vllm30gather_and_maybe_dequant_cacheI14__hip_bfloat16S1_LNS_18Fp8KVCacheDataTypeE0ELi320ELi64EEEvPKT0_PT_PKiS9_S9_iillllPKfS9_,comdat
	.protected	_ZN4vllm30gather_and_maybe_dequant_cacheI14__hip_bfloat16S1_LNS_18Fp8KVCacheDataTypeE0ELi320ELi64EEEvPKT0_PT_PKiS9_S9_iillllPKfS9_ ; -- Begin function _ZN4vllm30gather_and_maybe_dequant_cacheI14__hip_bfloat16S1_LNS_18Fp8KVCacheDataTypeE0ELi320ELi64EEEvPKT0_PT_PKiS9_S9_iillllPKfS9_
	.globl	_ZN4vllm30gather_and_maybe_dequant_cacheI14__hip_bfloat16S1_LNS_18Fp8KVCacheDataTypeE0ELi320ELi64EEEvPKT0_PT_PKiS9_S9_iillllPKfS9_
	.p2align	8
	.type	_ZN4vllm30gather_and_maybe_dequant_cacheI14__hip_bfloat16S1_LNS_18Fp8KVCacheDataTypeE0ELi320ELi64EEEvPKT0_PT_PKiS9_S9_iillllPKfS9_,@function
_ZN4vllm30gather_and_maybe_dequant_cacheI14__hip_bfloat16S1_LNS_18Fp8KVCacheDataTypeE0ELi320ELi64EEEvPKT0_PT_PKiS9_S9_iillllPKfS9_: ; @_ZN4vllm30gather_and_maybe_dequant_cacheI14__hip_bfloat16S1_LNS_18Fp8KVCacheDataTypeE0ELi320ELi64EEEvPKT0_PT_PKiS9_S9_iillllPKfS9_
; %bb.0:
	s_mov_b64 s[24:25], s[0:1]
	s_load_dword s0, s[0:1], 0x6c
	s_mov_b32 s22, s2
	s_add_u32 s34, s24, 0x60
	v_mov_b32_e32 v42, v0
	s_addc_u32 s35, s25, 0
	s_waitcnt lgkmcnt(0)
	v_cmp_eq_u16_e64 s[2:3], s0, 64
	s_mov_b64 s[0:1], -1
	s_and_b64 vcc, exec, s[2:3]
	s_mov_b32 s32, 0
	s_cbranch_vccnz .LBB47_2
; %bb.1:
	s_add_u32 s8, s24, 0x60
	s_addc_u32 s9, s25, 0
	s_getpc_b64 s[0:1]
	s_add_u32 s0, s0, .str.2@rel32@lo+4
	s_addc_u32 s1, s1, .str.2@rel32@hi+12
	s_getpc_b64 s[2:3]
	s_add_u32 s2, s2, .str.3@rel32@lo+4
	s_addc_u32 s3, s3, .str.3@rel32@hi+12
	s_getpc_b64 s[4:5]
	s_add_u32 s4, s4, __PRETTY_FUNCTION__._ZN4vllm30gather_and_maybe_dequant_cacheI14__hip_bfloat16S1_LNS_18Fp8KVCacheDataTypeE0ELi320ELi64EEEvPKT0_PT_PKiS9_S9_iillllPKfS9_@rel32@lo+4
	s_addc_u32 s5, s5, __PRETTY_FUNCTION__._ZN4vllm30gather_and_maybe_dequant_cacheI14__hip_bfloat16S1_LNS_18Fp8KVCacheDataTypeE0ELi320ELi64EEEvPKT0_PT_PKiS9_S9_iillllPKfS9_@rel32@hi+12
	v_mov_b32_e32 v0, s0
	v_mov_b32_e32 v1, s1
	;; [unrolled: 1-line block ×7, first 2 shown]
	s_getpc_b64 s[6:7]
	s_add_u32 s6, s6, __assert_fail@rel32@lo+4
	s_addc_u32 s7, s7, __assert_fail@rel32@hi+12
	s_swappc_b64 s[30:31], s[6:7]
	s_mov_b64 s[0:1], 0
	; divergent unreachable
.LBB47_2:
	s_andn2_b64 vcc, exec, s[0:1]
	s_cbranch_vccnz .LBB47_12
; %bb.3:
	s_load_dwordx2 s[20:21], s[24:25], 0x28
	s_waitcnt lgkmcnt(0)
	s_cmp_ge_i32 s22, s20
	s_cbranch_scc1 .LBB47_12
; %bb.4:
	s_load_dwordx2 s[26:27], s[24:25], 0x58
	s_load_dwordx8 s[4:11], s[24:25], 0x0
	s_load_dwordx2 s[28:29], s[24:25], 0x20
	s_load_dword s33, s[34:35], 0x0
	s_load_dwordx8 s[12:19], s[24:25], 0x30
	s_waitcnt lgkmcnt(0)
	s_cmp_lg_u64 s[26:27], 0
	s_cselect_b64 s[2:3], -1, 0
	s_abs_i32 s36, s21
	v_cvt_f32_u32_e32 v0, s36
	v_mov_b32_e32 v1, 0
	v_cndmask_b32_e64 v3, 0, 1, s[2:3]
	v_cmp_gt_u32_e64 s[0:1], 40, v42
	v_rcp_iflag_f32_e32 v2, v0
	v_lshlrev_b32_e32 v0, 4, v42
	v_lshl_add_u64 v[0:1], s[6:7], 0, v[0:1]
	s_sub_i32 s6, 0, s36
	v_mul_f32_e32 v2, 0x4f7ffffe, v2
	v_cvt_u32_f32_e32 v2, v2
	s_ashr_i32 s13, s21, 31
	v_cmp_ne_u32_e64 s[2:3], 1, v3
	v_readfirstlane_b32 s7, v2
	s_mul_i32 s6, s6, s7
	s_mul_hi_u32 s6, s7, s6
	s_add_i32 s37, s7, s6
	v_lshlrev_b32_e32 v2, 4, v42
	s_branch .LBB47_7
.LBB47_5:                               ;   in Loop: Header=BB47_7 Depth=1
	s_or_b64 exec, exec, s[6:7]
	s_add_i32 s22, s22, s33
	s_cmp_ge_i32 s22, s20
	s_cselect_b64 s[34:35], -1, 0
.LBB47_6:                               ;   in Loop: Header=BB47_7 Depth=1
	s_and_b64 vcc, exec, s[34:35]
	s_cbranch_vccnz .LBB47_12
.LBB47_7:                               ; =>This Inner Loop Header: Depth=1
	s_ashr_i32 s23, s22, 31
	s_lshl_b64 s[6:7], s[22:23], 2
	s_add_u32 s6, s28, s6
	s_addc_u32 s7, s29, s7
	s_load_dword s24, s[6:7], 0x0
	s_mov_b64 s[34:35], -1
	s_waitcnt lgkmcnt(0)
	s_ashr_i32 s25, s24, 31
	s_lshl_b64 s[6:7], s[24:25], 2
	s_add_u32 s30, s10, s6
	s_addc_u32 s31, s11, s7
	s_load_dwordx2 s[30:31], s[30:31], 0x0
	s_waitcnt lgkmcnt(0)
	s_cmp_ge_i32 s22, s31
	s_cbranch_scc1 .LBB47_6
; %bb.8:                                ;   in Loop: Header=BB47_7 Depth=1
	s_and_b64 vcc, exec, s[2:3]
	s_cbranch_vccnz .LBB47_10
; %bb.9:                                ;   in Loop: Header=BB47_7 Depth=1
	s_add_u32 s6, s26, s6
	s_addc_u32 s7, s27, s7
	s_load_dword s25, s[6:7], 0x0
	s_and_saveexec_b64 s[6:7], s[0:1]
	s_cbranch_execz .LBB47_5
	s_branch .LBB47_11
.LBB47_10:                              ;   in Loop: Header=BB47_7 Depth=1
	s_mov_b32 s25, 0
	s_and_saveexec_b64 s[6:7], s[0:1]
	s_cbranch_execz .LBB47_5
.LBB47_11:                              ;   in Loop: Header=BB47_7 Depth=1
	s_waitcnt lgkmcnt(0)
	s_sub_i32 s25, s25, s30
	s_add_i32 s30, s22, s25
	s_abs_i32 s31, s30
	s_mul_hi_u32 s34, s31, s37
	s_mul_i32 s35, s34, s36
	s_ashr_i32 s25, s30, 31
	s_sub_i32 s31, s31, s35
	s_xor_b32 s25, s25, s13
	s_add_i32 s35, s34, 1
	s_sub_i32 s38, s31, s36
	s_cmp_ge_u32 s31, s36
	s_cselect_b32 s34, s35, s34
	s_cselect_b32 s31, s38, s31
	s_add_i32 s35, s34, 1
	s_cmp_ge_u32 s31, s36
	s_cselect_b32 s31, s35, s34
	s_xor_b32 s31, s31, s25
	s_sub_i32 s31, s31, s25
	s_mul_i32 s24, s24, s12
	s_add_i32 s24, s31, s24
	s_ashr_i32 s25, s24, 31
	s_lshl_b64 s[24:25], s[24:25], 2
	s_add_u32 s24, s8, s24
	s_addc_u32 s25, s9, s25
	s_load_dword s24, s[24:25], 0x0
	s_mul_i32 s31, s31, s21
	s_mul_i32 s23, s23, s18
	s_waitcnt lgkmcnt(0)
	s_ashr_i32 s25, s24, 31
	s_mul_i32 s34, s24, s15
	s_mul_hi_u32 s35, s24, s14
	s_add_i32 s34, s35, s34
	s_mul_i32 s25, s25, s14
	s_add_i32 s25, s34, s25
	s_mul_i32 s24, s24, s14
	s_lshl_b64 s[24:25], s[24:25], 1
	s_add_u32 s34, s4, s24
	s_addc_u32 s35, s5, s25
	s_sub_i32 s24, s30, s31
	s_ashr_i32 s25, s24, 31
	s_mul_i32 s30, s24, s17
	s_mul_hi_u32 s31, s24, s16
	s_add_i32 s30, s31, s30
	s_mul_i32 s25, s25, s16
	s_add_i32 s25, s30, s25
	s_mul_i32 s24, s24, s16
	s_lshl_b64 s[24:25], s[24:25], 1
	s_add_u32 s24, s34, s24
	s_addc_u32 s25, s35, s25
	global_load_dwordx4 v[4:7], v2, s[24:25]
	s_mul_i32 s24, s22, s19
	s_mul_hi_u32 s25, s22, s18
	s_add_i32 s24, s25, s24
	s_add_i32 s25, s24, s23
	s_mul_i32 s24, s22, s18
	v_lshl_add_u64 v[8:9], s[24:25], 1, v[0:1]
	s_waitcnt vmcnt(0)
	global_store_dwordx4 v[8:9], v[4:7], off
	s_branch .LBB47_5
.LBB47_12:
	s_endpgm
	.section	.rodata,"a",@progbits
	.p2align	6, 0x0
	.amdhsa_kernel _ZN4vllm30gather_and_maybe_dequant_cacheI14__hip_bfloat16S1_LNS_18Fp8KVCacheDataTypeE0ELi320ELi64EEEvPKT0_PT_PKiS9_S9_iillllPKfS9_
		.amdhsa_group_segment_fixed_size 0
		.amdhsa_private_segment_fixed_size 64
		.amdhsa_kernarg_size 352
		.amdhsa_user_sgpr_count 2
		.amdhsa_user_sgpr_dispatch_ptr 0
		.amdhsa_user_sgpr_queue_ptr 0
		.amdhsa_user_sgpr_kernarg_segment_ptr 1
		.amdhsa_user_sgpr_dispatch_id 0
		.amdhsa_user_sgpr_kernarg_preload_length 0
		.amdhsa_user_sgpr_kernarg_preload_offset 0
		.amdhsa_user_sgpr_private_segment_size 0
		.amdhsa_uses_dynamic_stack 0
		.amdhsa_enable_private_segment 1
		.amdhsa_system_sgpr_workgroup_id_x 1
		.amdhsa_system_sgpr_workgroup_id_y 0
		.amdhsa_system_sgpr_workgroup_id_z 0
		.amdhsa_system_sgpr_workgroup_info 0
		.amdhsa_system_vgpr_workitem_id 0
		.amdhsa_next_free_vgpr 53
		.amdhsa_next_free_sgpr 39
		.amdhsa_accum_offset 56
		.amdhsa_reserve_vcc 1
		.amdhsa_float_round_mode_32 0
		.amdhsa_float_round_mode_16_64 0
		.amdhsa_float_denorm_mode_32 3
		.amdhsa_float_denorm_mode_16_64 3
		.amdhsa_dx10_clamp 1
		.amdhsa_ieee_mode 1
		.amdhsa_fp16_overflow 0
		.amdhsa_tg_split 0
		.amdhsa_exception_fp_ieee_invalid_op 0
		.amdhsa_exception_fp_denorm_src 0
		.amdhsa_exception_fp_ieee_div_zero 0
		.amdhsa_exception_fp_ieee_overflow 0
		.amdhsa_exception_fp_ieee_underflow 0
		.amdhsa_exception_fp_ieee_inexact 0
		.amdhsa_exception_int_div_zero 0
	.end_amdhsa_kernel
	.section	.text._ZN4vllm30gather_and_maybe_dequant_cacheI14__hip_bfloat16S1_LNS_18Fp8KVCacheDataTypeE0ELi320ELi64EEEvPKT0_PT_PKiS9_S9_iillllPKfS9_,"axG",@progbits,_ZN4vllm30gather_and_maybe_dequant_cacheI14__hip_bfloat16S1_LNS_18Fp8KVCacheDataTypeE0ELi320ELi64EEEvPKT0_PT_PKiS9_S9_iillllPKfS9_,comdat
.Lfunc_end47:
	.size	_ZN4vllm30gather_and_maybe_dequant_cacheI14__hip_bfloat16S1_LNS_18Fp8KVCacheDataTypeE0ELi320ELi64EEEvPKT0_PT_PKiS9_S9_iillllPKfS9_, .Lfunc_end47-_ZN4vllm30gather_and_maybe_dequant_cacheI14__hip_bfloat16S1_LNS_18Fp8KVCacheDataTypeE0ELi320ELi64EEEvPKT0_PT_PKiS9_S9_iillllPKfS9_
                                        ; -- End function
	.section	.AMDGPU.csdata,"",@progbits
; Kernel info:
; codeLenInByte = 768
; NumSgprs: 45
; NumVgprs: 53
; NumAgprs: 0
; TotalNumVgprs: 53
; ScratchSize: 64
; MemoryBound: 0
; FloatMode: 240
; IeeeMode: 1
; LDSByteSize: 0 bytes/workgroup (compile time only)
; SGPRBlocks: 5
; VGPRBlocks: 6
; NumSGPRsForWavesPerEU: 45
; NumVGPRsForWavesPerEU: 53
; AccumOffset: 56
; Occupancy: 8
; WaveLimiterHint : 1
; COMPUTE_PGM_RSRC2:SCRATCH_EN: 1
; COMPUTE_PGM_RSRC2:USER_SGPR: 2
; COMPUTE_PGM_RSRC2:TRAP_HANDLER: 0
; COMPUTE_PGM_RSRC2:TGID_X_EN: 1
; COMPUTE_PGM_RSRC2:TGID_Y_EN: 0
; COMPUTE_PGM_RSRC2:TGID_Z_EN: 0
; COMPUTE_PGM_RSRC2:TIDIG_COMP_CNT: 0
; COMPUTE_PGM_RSRC3_GFX90A:ACCUM_OFFSET: 13
; COMPUTE_PGM_RSRC3_GFX90A:TG_SPLIT: 0
	.section	.text._ZN4vllm30gather_and_maybe_dequant_cacheIfhLNS_18Fp8KVCacheDataTypeE1ELi320ELi64EEEvPKT0_PT_PKiS8_S8_iillllPKfS8_,"axG",@progbits,_ZN4vllm30gather_and_maybe_dequant_cacheIfhLNS_18Fp8KVCacheDataTypeE1ELi320ELi64EEEvPKT0_PT_PKiS8_S8_iillllPKfS8_,comdat
	.protected	_ZN4vllm30gather_and_maybe_dequant_cacheIfhLNS_18Fp8KVCacheDataTypeE1ELi320ELi64EEEvPKT0_PT_PKiS8_S8_iillllPKfS8_ ; -- Begin function _ZN4vllm30gather_and_maybe_dequant_cacheIfhLNS_18Fp8KVCacheDataTypeE1ELi320ELi64EEEvPKT0_PT_PKiS8_S8_iillllPKfS8_
	.globl	_ZN4vllm30gather_and_maybe_dequant_cacheIfhLNS_18Fp8KVCacheDataTypeE1ELi320ELi64EEEvPKT0_PT_PKiS8_S8_iillllPKfS8_
	.p2align	8
	.type	_ZN4vllm30gather_and_maybe_dequant_cacheIfhLNS_18Fp8KVCacheDataTypeE1ELi320ELi64EEEvPKT0_PT_PKiS8_S8_iillllPKfS8_,@function
_ZN4vllm30gather_and_maybe_dequant_cacheIfhLNS_18Fp8KVCacheDataTypeE1ELi320ELi64EEEvPKT0_PT_PKiS8_S8_iillllPKfS8_: ; @_ZN4vllm30gather_and_maybe_dequant_cacheIfhLNS_18Fp8KVCacheDataTypeE1ELi320ELi64EEEvPKT0_PT_PKiS8_S8_iillllPKfS8_
; %bb.0:
	s_mov_b64 s[24:25], s[0:1]
	s_load_dword s0, s[0:1], 0x6c
	s_mov_b32 s22, s2
	s_add_u32 s34, s24, 0x60
	v_mov_b32_e32 v41, v0
	s_addc_u32 s35, s25, 0
	s_waitcnt lgkmcnt(0)
	v_cmp_eq_u16_e64 s[2:3], s0, 64
	s_mov_b64 s[0:1], -1
	s_and_b64 vcc, exec, s[2:3]
	s_mov_b32 s32, 0
	s_cbranch_vccnz .LBB48_2
; %bb.1:
	s_add_u32 s8, s24, 0x60
	s_addc_u32 s9, s25, 0
	s_getpc_b64 s[0:1]
	s_add_u32 s0, s0, .str.2@rel32@lo+4
	s_addc_u32 s1, s1, .str.2@rel32@hi+12
	s_getpc_b64 s[2:3]
	s_add_u32 s2, s2, .str.3@rel32@lo+4
	s_addc_u32 s3, s3, .str.3@rel32@hi+12
	s_getpc_b64 s[4:5]
	s_add_u32 s4, s4, __PRETTY_FUNCTION__._ZN4vllm30gather_and_maybe_dequant_cacheIfhLNS_18Fp8KVCacheDataTypeE1ELi320ELi64EEEvPKT0_PT_PKiS8_S8_iillllPKfS8_@rel32@lo+4
	s_addc_u32 s5, s5, __PRETTY_FUNCTION__._ZN4vllm30gather_and_maybe_dequant_cacheIfhLNS_18Fp8KVCacheDataTypeE1ELi320ELi64EEEvPKT0_PT_PKiS8_S8_iillllPKfS8_@rel32@hi+12
	v_mov_b32_e32 v0, s0
	v_mov_b32_e32 v1, s1
	;; [unrolled: 1-line block ×7, first 2 shown]
	s_getpc_b64 s[6:7]
	s_add_u32 s6, s6, __assert_fail@rel32@lo+4
	s_addc_u32 s7, s7, __assert_fail@rel32@hi+12
	s_swappc_b64 s[30:31], s[6:7]
	s_mov_b64 s[0:1], 0
	; divergent unreachable
.LBB48_2:
	s_andn2_b64 vcc, exec, s[0:1]
	s_cbranch_vccnz .LBB48_13
; %bb.3:
	s_load_dwordx2 s[20:21], s[24:25], 0x28
	s_waitcnt lgkmcnt(0)
	s_cmp_ge_i32 s22, s20
	s_cbranch_scc1 .LBB48_13
; %bb.4:
	s_load_dwordx4 s[28:31], s[24:25], 0x50
	s_load_dwordx8 s[4:11], s[24:25], 0x0
	s_load_dwordx2 s[26:27], s[24:25], 0x20
	s_load_dword s33, s[34:35], 0x0
	s_load_dwordx8 s[12:19], s[24:25], 0x30
	s_waitcnt lgkmcnt(0)
	s_cmp_lg_u64 s[30:31], 0
	s_cselect_b64 s[2:3], -1, 0
	s_abs_i32 s40, s21
	v_cvt_f32_u32_e32 v0, s40
	v_lshlrev_b32_e32 v2, 2, v41
	v_mov_b32_e32 v3, 0
	s_movk_i32 s0, 0x50
	v_rcp_iflag_f32_e32 v0, v0
	v_subrev_u32_e32 v8, 64, v41
	v_cmp_gt_u32_e64 s[0:1], s0, v41
	s_ashr_i32 s13, s21, 31
	v_mul_f32_e32 v0, 0x4f7ffffe, v0
	v_cvt_u32_f32_e32 v4, v0
	v_lshl_add_u64 v[0:1], s[4:5], 0, v[2:3]
	s_sub_i32 s4, 0, s40
	v_lshlrev_b32_e32 v2, 4, v41
	v_readfirstlane_b32 s5, v4
	s_mul_i32 s4, s4, s5
	s_mul_hi_u32 s4, s5, s4
	v_lshl_add_u64 v[2:3], v[2:3], 0, s[6:7]
	v_cndmask_b32_e64 v4, 0, 1, s[2:3]
	s_add_i32 s41, s5, s4
	v_lshl_add_u64 v[2:3], v[2:3], 0, 8
	s_lshl_b64 s[4:5], s[18:19], 2
	v_cmp_ne_u32_e64 s[2:3], 1, v4
	s_mov_b64 s[6:7], 0x100
	s_mov_b64 s[18:19], 0x400
	s_branch .LBB48_7
.LBB48_5:                               ;   in Loop: Header=BB48_7 Depth=1
	s_or_b64 exec, exec, s[24:25]
	s_add_i32 s22, s22, s33
	s_cmp_ge_i32 s22, s20
	s_cselect_b64 s[38:39], -1, 0
.LBB48_6:                               ;   in Loop: Header=BB48_7 Depth=1
	s_and_b64 vcc, exec, s[38:39]
	s_cbranch_vccnz .LBB48_13
.LBB48_7:                               ; =>This Loop Header: Depth=1
                                        ;     Child Loop BB48_12 Depth 2
	s_ashr_i32 s23, s22, 31
	s_lshl_b64 s[24:25], s[22:23], 2
	s_add_u32 s24, s26, s24
	s_addc_u32 s25, s27, s25
	s_load_dword s34, s[24:25], 0x0
	s_mov_b64 s[38:39], -1
	s_waitcnt lgkmcnt(0)
	s_ashr_i32 s35, s34, 31
	s_lshl_b64 s[24:25], s[34:35], 2
	s_add_u32 s36, s10, s24
	s_addc_u32 s37, s11, s25
	s_load_dwordx2 s[36:37], s[36:37], 0x0
	s_waitcnt lgkmcnt(0)
	s_cmp_ge_i32 s22, s37
	s_cbranch_scc1 .LBB48_6
; %bb.8:                                ;   in Loop: Header=BB48_7 Depth=1
	s_and_b64 vcc, exec, s[2:3]
	s_cbranch_vccnz .LBB48_10
; %bb.9:                                ;   in Loop: Header=BB48_7 Depth=1
	s_add_u32 s24, s30, s24
	s_addc_u32 s25, s31, s25
	s_load_dword s35, s[24:25], 0x0
	s_and_saveexec_b64 s[24:25], s[0:1]
	s_cbranch_execz .LBB48_5
	s_branch .LBB48_11
.LBB48_10:                              ;   in Loop: Header=BB48_7 Depth=1
	s_mov_b32 s35, 0
	s_and_saveexec_b64 s[24:25], s[0:1]
	s_cbranch_execz .LBB48_5
.LBB48_11:                              ;   in Loop: Header=BB48_7 Depth=1
	s_sub_i32 s36, s22, s36
	s_waitcnt lgkmcnt(0)
	s_add_i32 s35, s35, s36
	s_abs_i32 s37, s35
	s_mul_hi_u32 s38, s37, s41
	s_mul_i32 s39, s38, s40
	s_ashr_i32 s36, s35, 31
	s_sub_i32 s37, s37, s39
	s_xor_b32 s36, s36, s13
	s_add_i32 s39, s38, 1
	s_sub_i32 s42, s37, s40
	s_cmp_ge_u32 s37, s40
	s_cselect_b32 s38, s39, s38
	s_cselect_b32 s37, s42, s37
	s_add_i32 s39, s38, 1
	s_cmp_ge_u32 s37, s40
	s_cselect_b32 s37, s39, s38
	s_xor_b32 s37, s37, s36
	s_sub_i32 s36, s37, s36
	s_mul_i32 s34, s34, s12
	s_mul_i32 s37, s36, s21
	s_add_i32 s34, s36, s34
	s_sub_i32 s37, s35, s37
	s_ashr_i32 s35, s34, 31
	s_lshl_b64 s[34:35], s[34:35], 2
	s_add_u32 s34, s8, s34
	s_addc_u32 s35, s9, s35
	s_load_dword s34, s[34:35], 0x0
	s_mul_i32 s23, s4, s23
	v_mov_b32_e32 v4, s22
	s_mul_i32 s43, s37, s16
	v_mov_b32_e32 v9, v8
	s_waitcnt lgkmcnt(0)
	s_ashr_i32 s35, s34, 31
	s_mul_i32 s36, s34, s15
	s_mul_hi_u32 s38, s34, s14
	s_add_i32 s36, s38, s36
	s_mul_i32 s35, s35, s14
	s_add_i32 s38, s36, s35
	s_mul_i32 s39, s34, s14
	s_ashr_i32 s34, s37, 31
	s_mul_i32 s35, s37, s17
	s_mul_hi_u32 s36, s37, s16
	s_add_i32 s35, s36, s35
	s_mul_i32 s34, s34, s16
	s_add_i32 s42, s35, s34
	s_mul_i32 s34, s5, s22
	s_add_i32 s23, s23, s34
	s_load_dword s34, s[28:29], 0x0
	v_mad_u64_u32 v[4:5], s[36:37], s4, v4, v[2:3]
	s_add_u32 s36, s39, s43
	s_addc_u32 s37, s38, s42
	v_add_u32_e32 v5, s23, v5
	s_waitcnt lgkmcnt(0)
	s_mov_b32 s35, s34
	v_lshl_add_u64 v[6:7], v[0:1], 0, s[36:37]
	s_mov_b64 s[36:37], 0
.LBB48_12:                              ;   Parent Loop BB48_7 Depth=1
                                        ; =>  This Inner Loop Header: Depth=2
	global_load_dword v10, v[6:7], off
	v_add_u32_e32 v9, 64, v9
	v_cmp_lt_u32_e32 vcc, 15, v9
	v_lshl_add_u64 v[6:7], v[6:7], 0, s[6:7]
	s_or_b64 s[36:37], vcc, s[36:37]
	s_waitcnt vmcnt(0)
	v_lshrrev_b32_e32 v13, 24, v10
	v_and_b32_e32 v11, 0xff, v10
	v_bfe_u32 v12, v10, 8, 8
	v_bfe_u32 v14, v10, 16, 8
	v_cvt_f32_fp8_sdwa v10, v11 src0_sel:BYTE_0
	v_cvt_f32_fp8_sdwa v11, v12 src0_sel:BYTE_0
	;; [unrolled: 1-line block ×4, first 2 shown]
	v_pk_mul_f32 v[10:11], s[34:35], v[10:11]
	v_pk_mul_f32 v[12:13], s[34:35], v[12:13]
	global_store_dwordx4 v[4:5], v[10:13], off offset:-8
	v_lshl_add_u64 v[4:5], v[4:5], 0, s[18:19]
	s_andn2_b64 exec, exec, s[36:37]
	s_cbranch_execnz .LBB48_12
	s_branch .LBB48_5
.LBB48_13:
	s_endpgm
	.section	.rodata,"a",@progbits
	.p2align	6, 0x0
	.amdhsa_kernel _ZN4vllm30gather_and_maybe_dequant_cacheIfhLNS_18Fp8KVCacheDataTypeE1ELi320ELi64EEEvPKT0_PT_PKiS8_S8_iillllPKfS8_
		.amdhsa_group_segment_fixed_size 0
		.amdhsa_private_segment_fixed_size 64
		.amdhsa_kernarg_size 352
		.amdhsa_user_sgpr_count 2
		.amdhsa_user_sgpr_dispatch_ptr 0
		.amdhsa_user_sgpr_queue_ptr 0
		.amdhsa_user_sgpr_kernarg_segment_ptr 1
		.amdhsa_user_sgpr_dispatch_id 0
		.amdhsa_user_sgpr_kernarg_preload_length 0
		.amdhsa_user_sgpr_kernarg_preload_offset 0
		.amdhsa_user_sgpr_private_segment_size 0
		.amdhsa_uses_dynamic_stack 0
		.amdhsa_enable_private_segment 1
		.amdhsa_system_sgpr_workgroup_id_x 1
		.amdhsa_system_sgpr_workgroup_id_y 0
		.amdhsa_system_sgpr_workgroup_id_z 0
		.amdhsa_system_sgpr_workgroup_info 0
		.amdhsa_system_vgpr_workitem_id 0
		.amdhsa_next_free_vgpr 53
		.amdhsa_next_free_sgpr 44
		.amdhsa_accum_offset 56
		.amdhsa_reserve_vcc 1
		.amdhsa_float_round_mode_32 0
		.amdhsa_float_round_mode_16_64 0
		.amdhsa_float_denorm_mode_32 3
		.amdhsa_float_denorm_mode_16_64 3
		.amdhsa_dx10_clamp 1
		.amdhsa_ieee_mode 1
		.amdhsa_fp16_overflow 0
		.amdhsa_tg_split 0
		.amdhsa_exception_fp_ieee_invalid_op 0
		.amdhsa_exception_fp_denorm_src 0
		.amdhsa_exception_fp_ieee_div_zero 0
		.amdhsa_exception_fp_ieee_overflow 0
		.amdhsa_exception_fp_ieee_underflow 0
		.amdhsa_exception_fp_ieee_inexact 0
		.amdhsa_exception_int_div_zero 0
	.end_amdhsa_kernel
	.section	.text._ZN4vllm30gather_and_maybe_dequant_cacheIfhLNS_18Fp8KVCacheDataTypeE1ELi320ELi64EEEvPKT0_PT_PKiS8_S8_iillllPKfS8_,"axG",@progbits,_ZN4vllm30gather_and_maybe_dequant_cacheIfhLNS_18Fp8KVCacheDataTypeE1ELi320ELi64EEEvPKT0_PT_PKiS8_S8_iillllPKfS8_,comdat
.Lfunc_end48:
	.size	_ZN4vllm30gather_and_maybe_dequant_cacheIfhLNS_18Fp8KVCacheDataTypeE1ELi320ELi64EEEvPKT0_PT_PKiS8_S8_iillllPKfS8_, .Lfunc_end48-_ZN4vllm30gather_and_maybe_dequant_cacheIfhLNS_18Fp8KVCacheDataTypeE1ELi320ELi64EEEvPKT0_PT_PKiS8_S8_iillllPKfS8_
                                        ; -- End function
	.section	.AMDGPU.csdata,"",@progbits
; Kernel info:
; codeLenInByte = 936
; NumSgprs: 50
; NumVgprs: 53
; NumAgprs: 0
; TotalNumVgprs: 53
; ScratchSize: 64
; MemoryBound: 0
; FloatMode: 240
; IeeeMode: 1
; LDSByteSize: 0 bytes/workgroup (compile time only)
; SGPRBlocks: 6
; VGPRBlocks: 6
; NumSGPRsForWavesPerEU: 50
; NumVGPRsForWavesPerEU: 53
; AccumOffset: 56
; Occupancy: 8
; WaveLimiterHint : 1
; COMPUTE_PGM_RSRC2:SCRATCH_EN: 1
; COMPUTE_PGM_RSRC2:USER_SGPR: 2
; COMPUTE_PGM_RSRC2:TRAP_HANDLER: 0
; COMPUTE_PGM_RSRC2:TGID_X_EN: 1
; COMPUTE_PGM_RSRC2:TGID_Y_EN: 0
; COMPUTE_PGM_RSRC2:TGID_Z_EN: 0
; COMPUTE_PGM_RSRC2:TIDIG_COMP_CNT: 0
; COMPUTE_PGM_RSRC3_GFX90A:ACCUM_OFFSET: 13
; COMPUTE_PGM_RSRC3_GFX90A:TG_SPLIT: 0
	.section	.text._ZN4vllm30gather_and_maybe_dequant_cacheIthLNS_18Fp8KVCacheDataTypeE1ELi320ELi64EEEvPKT0_PT_PKiS8_S8_iillllPKfS8_,"axG",@progbits,_ZN4vllm30gather_and_maybe_dequant_cacheIthLNS_18Fp8KVCacheDataTypeE1ELi320ELi64EEEvPKT0_PT_PKiS8_S8_iillllPKfS8_,comdat
	.protected	_ZN4vllm30gather_and_maybe_dequant_cacheIthLNS_18Fp8KVCacheDataTypeE1ELi320ELi64EEEvPKT0_PT_PKiS8_S8_iillllPKfS8_ ; -- Begin function _ZN4vllm30gather_and_maybe_dequant_cacheIthLNS_18Fp8KVCacheDataTypeE1ELi320ELi64EEEvPKT0_PT_PKiS8_S8_iillllPKfS8_
	.globl	_ZN4vllm30gather_and_maybe_dequant_cacheIthLNS_18Fp8KVCacheDataTypeE1ELi320ELi64EEEvPKT0_PT_PKiS8_S8_iillllPKfS8_
	.p2align	8
	.type	_ZN4vllm30gather_and_maybe_dequant_cacheIthLNS_18Fp8KVCacheDataTypeE1ELi320ELi64EEEvPKT0_PT_PKiS8_S8_iillllPKfS8_,@function
_ZN4vllm30gather_and_maybe_dequant_cacheIthLNS_18Fp8KVCacheDataTypeE1ELi320ELi64EEEvPKT0_PT_PKiS8_S8_iillllPKfS8_: ; @_ZN4vllm30gather_and_maybe_dequant_cacheIthLNS_18Fp8KVCacheDataTypeE1ELi320ELi64EEEvPKT0_PT_PKiS8_S8_iillllPKfS8_
; %bb.0:
	s_mov_b64 s[24:25], s[0:1]
	s_load_dword s0, s[0:1], 0x6c
	s_mov_b32 s22, s2
	s_add_u32 s34, s24, 0x60
	v_mov_b32_e32 v42, v0
	s_addc_u32 s35, s25, 0
	s_waitcnt lgkmcnt(0)
	v_cmp_eq_u16_e64 s[2:3], s0, 64
	s_mov_b64 s[0:1], -1
	s_and_b64 vcc, exec, s[2:3]
	s_mov_b32 s32, 0
	s_cbranch_vccnz .LBB49_2
; %bb.1:
	s_add_u32 s8, s24, 0x60
	s_addc_u32 s9, s25, 0
	s_getpc_b64 s[0:1]
	s_add_u32 s0, s0, .str.2@rel32@lo+4
	s_addc_u32 s1, s1, .str.2@rel32@hi+12
	s_getpc_b64 s[2:3]
	s_add_u32 s2, s2, .str.3@rel32@lo+4
	s_addc_u32 s3, s3, .str.3@rel32@hi+12
	s_getpc_b64 s[4:5]
	s_add_u32 s4, s4, __PRETTY_FUNCTION__._ZN4vllm30gather_and_maybe_dequant_cacheIthLNS_18Fp8KVCacheDataTypeE1ELi320ELi64EEEvPKT0_PT_PKiS8_S8_iillllPKfS8_@rel32@lo+4
	s_addc_u32 s5, s5, __PRETTY_FUNCTION__._ZN4vllm30gather_and_maybe_dequant_cacheIthLNS_18Fp8KVCacheDataTypeE1ELi320ELi64EEEvPKT0_PT_PKiS8_S8_iillllPKfS8_@rel32@hi+12
	v_mov_b32_e32 v0, s0
	v_mov_b32_e32 v1, s1
	;; [unrolled: 1-line block ×7, first 2 shown]
	s_getpc_b64 s[6:7]
	s_add_u32 s6, s6, __assert_fail@rel32@lo+4
	s_addc_u32 s7, s7, __assert_fail@rel32@hi+12
	s_swappc_b64 s[30:31], s[6:7]
	s_mov_b64 s[0:1], 0
	; divergent unreachable
.LBB49_2:
	s_andn2_b64 vcc, exec, s[0:1]
	s_cbranch_vccnz .LBB49_12
; %bb.3:
	s_load_dwordx2 s[20:21], s[24:25], 0x28
	s_waitcnt lgkmcnt(0)
	s_cmp_ge_i32 s22, s20
	s_cbranch_scc1 .LBB49_12
; %bb.4:
	s_load_dwordx4 s[28:31], s[24:25], 0x50
	s_load_dwordx8 s[4:11], s[24:25], 0x0
	s_load_dwordx2 s[26:27], s[24:25], 0x20
	s_load_dword s33, s[34:35], 0x0
	s_load_dwordx8 s[12:19], s[24:25], 0x30
	s_waitcnt lgkmcnt(0)
	s_cmp_lg_u64 s[30:31], 0
	s_cselect_b64 s[2:3], -1, 0
	s_abs_i32 s38, s21
	v_cvt_f32_u32_e32 v0, s38
	v_mov_b32_e32 v1, 0
	v_cndmask_b32_e64 v3, 0, 1, s[2:3]
	v_cmp_gt_u32_e64 s[0:1], 40, v42
	v_rcp_iflag_f32_e32 v2, v0
	v_lshlrev_b32_e32 v0, 4, v42
	v_lshl_add_u64 v[0:1], s[6:7], 0, v[0:1]
	s_sub_i32 s6, 0, s38
	v_mul_f32_e32 v2, 0x4f7ffffe, v2
	v_cvt_u32_f32_e32 v2, v2
	s_ashr_i32 s13, s21, 31
	v_cmp_ne_u32_e64 s[2:3], 1, v3
	v_readfirstlane_b32 s7, v2
	s_mul_i32 s6, s6, s7
	s_mul_hi_u32 s6, s7, s6
	s_add_i32 s39, s7, s6
	v_lshlrev_b32_e32 v2, 3, v42
	s_branch .LBB49_7
.LBB49_5:                               ;   in Loop: Header=BB49_7 Depth=1
	s_or_b64 exec, exec, s[6:7]
	s_add_i32 s22, s22, s33
	s_cmp_ge_i32 s22, s20
	s_cselect_b64 s[36:37], -1, 0
.LBB49_6:                               ;   in Loop: Header=BB49_7 Depth=1
	s_and_b64 vcc, exec, s[36:37]
	s_cbranch_vccnz .LBB49_12
.LBB49_7:                               ; =>This Inner Loop Header: Depth=1
	s_ashr_i32 s23, s22, 31
	s_lshl_b64 s[6:7], s[22:23], 2
	s_add_u32 s6, s26, s6
	s_addc_u32 s7, s27, s7
	s_load_dword s24, s[6:7], 0x0
	s_mov_b64 s[36:37], -1
	s_waitcnt lgkmcnt(0)
	s_ashr_i32 s25, s24, 31
	s_lshl_b64 s[6:7], s[24:25], 2
	s_add_u32 s34, s10, s6
	s_addc_u32 s35, s11, s7
	s_load_dwordx2 s[34:35], s[34:35], 0x0
	s_waitcnt lgkmcnt(0)
	s_cmp_ge_i32 s22, s35
	s_cbranch_scc1 .LBB49_6
; %bb.8:                                ;   in Loop: Header=BB49_7 Depth=1
	s_and_b64 vcc, exec, s[2:3]
	s_cbranch_vccnz .LBB49_10
; %bb.9:                                ;   in Loop: Header=BB49_7 Depth=1
	s_add_u32 s6, s30, s6
	s_addc_u32 s7, s31, s7
	s_load_dword s25, s[6:7], 0x0
	s_and_saveexec_b64 s[6:7], s[0:1]
	s_cbranch_execz .LBB49_5
	s_branch .LBB49_11
.LBB49_10:                              ;   in Loop: Header=BB49_7 Depth=1
	s_mov_b32 s25, 0
	s_and_saveexec_b64 s[6:7], s[0:1]
	s_cbranch_execz .LBB49_5
.LBB49_11:                              ;   in Loop: Header=BB49_7 Depth=1
	s_mul_i32 s35, s22, s19
	s_mul_hi_u32 s36, s22, s18
	s_add_i32 s35, s36, s35
	s_mul_i32 s23, s23, s18
	s_add_i32 s35, s35, s23
	s_waitcnt lgkmcnt(0)
	s_sub_i32 s23, s25, s34
	s_add_i32 s23, s22, s23
	s_abs_i32 s34, s23
	s_mul_hi_u32 s36, s34, s39
	s_mul_i32 s37, s36, s38
	s_ashr_i32 s25, s23, 31
	s_sub_i32 s34, s34, s37
	s_xor_b32 s25, s25, s13
	s_add_i32 s37, s36, 1
	s_sub_i32 s40, s34, s38
	s_cmp_ge_u32 s34, s38
	s_cselect_b32 s36, s37, s36
	s_cselect_b32 s34, s40, s34
	s_add_i32 s37, s36, 1
	s_cmp_ge_u32 s34, s38
	s_cselect_b32 s34, s37, s36
	s_xor_b32 s34, s34, s25
	s_sub_i32 s34, s34, s25
	s_mul_i32 s24, s24, s12
	s_add_i32 s24, s34, s24
	s_ashr_i32 s25, s24, 31
	s_lshl_b64 s[24:25], s[24:25], 2
	s_add_u32 s24, s8, s24
	s_addc_u32 s25, s9, s25
	s_load_dword s24, s[24:25], 0x0
	s_mul_i32 s34, s34, s21
	s_waitcnt lgkmcnt(0)
	s_ashr_i32 s25, s24, 31
	s_mul_i32 s36, s24, s15
	s_mul_hi_u32 s37, s24, s14
	s_add_i32 s36, s37, s36
	s_mul_i32 s25, s25, s14
	s_add_i32 s36, s36, s25
	s_mul_i32 s24, s24, s14
	s_add_u32 s24, s4, s24
	s_addc_u32 s25, s5, s36
	s_sub_i32 s23, s23, s34
	s_ashr_i32 s34, s23, 31
	s_mul_i32 s36, s23, s17
	s_mul_hi_u32 s37, s23, s16
	s_add_i32 s36, s37, s36
	s_mul_i32 s34, s34, s16
	s_add_i32 s36, s36, s34
	s_mul_i32 s23, s23, s16
	s_add_u32 s24, s24, s23
	s_addc_u32 s25, s25, s36
	global_load_dwordx2 v[4:5], v2, s[24:25]
	s_load_dword s23, s[28:29], 0x0
	s_mul_i32 s34, s22, s18
	v_lshl_add_u64 v[8:9], s[34:35], 1, v[0:1]
	s_waitcnt vmcnt(0)
	v_lshrrev_b32_e32 v3, 24, v4
	v_lshrrev_b32_e32 v6, 24, v5
	v_and_b32_e32 v7, 0xff, v4
	v_bfe_u32 v10, v4, 8, 8
	v_bfe_u32 v4, v4, 16, 8
	v_and_b32_e32 v11, 0xff, v5
	v_bfe_u32 v12, v5, 8, 8
	v_bfe_u32 v5, v5, 16, 8
	v_cvt_f32_fp8_sdwa v7, v7 src0_sel:BYTE_0
	v_cvt_f32_fp8_sdwa v13, v4 src0_sel:BYTE_0
	v_cvt_f32_fp8_sdwa v11, v11 src0_sel:BYTE_0
	v_cvt_f32_fp8_sdwa v14, v5 src0_sel:BYTE_0
	v_cvt_f32_fp8_sdwa v10, v10 src0_sel:BYTE_0
	v_cvt_f32_fp8_sdwa v3, v3 src0_sel:BYTE_0
	v_cvt_f32_fp8_sdwa v12, v12 src0_sel:BYTE_0
	v_cvt_f32_fp8_sdwa v15, v6 src0_sel:BYTE_0
	s_waitcnt lgkmcnt(0)
	v_fma_mixlo_f16 v4, s23, v7, 0
	v_fma_mixlo_f16 v5, s23, v13, 0
	v_fma_mixlo_f16 v6, s23, v11, 0
	v_fma_mixlo_f16 v7, s23, v14, 0
	v_fma_mixhi_f16 v7, s23, v15, 0
	v_fma_mixhi_f16 v6, s23, v12, 0
	v_fma_mixhi_f16 v5, s23, v3, 0
	v_fma_mixhi_f16 v4, s23, v10, 0
	global_store_dwordx4 v[8:9], v[4:7], off
	s_branch .LBB49_5
.LBB49_12:
	s_endpgm
	.section	.rodata,"a",@progbits
	.p2align	6, 0x0
	.amdhsa_kernel _ZN4vllm30gather_and_maybe_dequant_cacheIthLNS_18Fp8KVCacheDataTypeE1ELi320ELi64EEEvPKT0_PT_PKiS8_S8_iillllPKfS8_
		.amdhsa_group_segment_fixed_size 0
		.amdhsa_private_segment_fixed_size 64
		.amdhsa_kernarg_size 352
		.amdhsa_user_sgpr_count 2
		.amdhsa_user_sgpr_dispatch_ptr 0
		.amdhsa_user_sgpr_queue_ptr 0
		.amdhsa_user_sgpr_kernarg_segment_ptr 1
		.amdhsa_user_sgpr_dispatch_id 0
		.amdhsa_user_sgpr_kernarg_preload_length 0
		.amdhsa_user_sgpr_kernarg_preload_offset 0
		.amdhsa_user_sgpr_private_segment_size 0
		.amdhsa_uses_dynamic_stack 0
		.amdhsa_enable_private_segment 1
		.amdhsa_system_sgpr_workgroup_id_x 1
		.amdhsa_system_sgpr_workgroup_id_y 0
		.amdhsa_system_sgpr_workgroup_id_z 0
		.amdhsa_system_sgpr_workgroup_info 0
		.amdhsa_system_vgpr_workitem_id 0
		.amdhsa_next_free_vgpr 53
		.amdhsa_next_free_sgpr 41
		.amdhsa_accum_offset 56
		.amdhsa_reserve_vcc 1
		.amdhsa_float_round_mode_32 0
		.amdhsa_float_round_mode_16_64 0
		.amdhsa_float_denorm_mode_32 3
		.amdhsa_float_denorm_mode_16_64 3
		.amdhsa_dx10_clamp 1
		.amdhsa_ieee_mode 1
		.amdhsa_fp16_overflow 0
		.amdhsa_tg_split 0
		.amdhsa_exception_fp_ieee_invalid_op 0
		.amdhsa_exception_fp_denorm_src 0
		.amdhsa_exception_fp_ieee_div_zero 0
		.amdhsa_exception_fp_ieee_overflow 0
		.amdhsa_exception_fp_ieee_underflow 0
		.amdhsa_exception_fp_ieee_inexact 0
		.amdhsa_exception_int_div_zero 0
	.end_amdhsa_kernel
	.section	.text._ZN4vllm30gather_and_maybe_dequant_cacheIthLNS_18Fp8KVCacheDataTypeE1ELi320ELi64EEEvPKT0_PT_PKiS8_S8_iillllPKfS8_,"axG",@progbits,_ZN4vllm30gather_and_maybe_dequant_cacheIthLNS_18Fp8KVCacheDataTypeE1ELi320ELi64EEEvPKT0_PT_PKiS8_S8_iillllPKfS8_,comdat
.Lfunc_end49:
	.size	_ZN4vllm30gather_and_maybe_dequant_cacheIthLNS_18Fp8KVCacheDataTypeE1ELi320ELi64EEEvPKT0_PT_PKiS8_S8_iillllPKfS8_, .Lfunc_end49-_ZN4vllm30gather_and_maybe_dequant_cacheIthLNS_18Fp8KVCacheDataTypeE1ELi320ELi64EEEvPKT0_PT_PKiS8_S8_iillllPKfS8_
                                        ; -- End function
	.section	.AMDGPU.csdata,"",@progbits
; Kernel info:
; codeLenInByte = 956
; NumSgprs: 47
; NumVgprs: 53
; NumAgprs: 0
; TotalNumVgprs: 53
; ScratchSize: 64
; MemoryBound: 0
; FloatMode: 240
; IeeeMode: 1
; LDSByteSize: 0 bytes/workgroup (compile time only)
; SGPRBlocks: 5
; VGPRBlocks: 6
; NumSGPRsForWavesPerEU: 47
; NumVGPRsForWavesPerEU: 53
; AccumOffset: 56
; Occupancy: 8
; WaveLimiterHint : 1
; COMPUTE_PGM_RSRC2:SCRATCH_EN: 1
; COMPUTE_PGM_RSRC2:USER_SGPR: 2
; COMPUTE_PGM_RSRC2:TRAP_HANDLER: 0
; COMPUTE_PGM_RSRC2:TGID_X_EN: 1
; COMPUTE_PGM_RSRC2:TGID_Y_EN: 0
; COMPUTE_PGM_RSRC2:TGID_Z_EN: 0
; COMPUTE_PGM_RSRC2:TIDIG_COMP_CNT: 0
; COMPUTE_PGM_RSRC3_GFX90A:ACCUM_OFFSET: 13
; COMPUTE_PGM_RSRC3_GFX90A:TG_SPLIT: 0
	.section	.text._ZN4vllm30gather_and_maybe_dequant_cacheI14__hip_bfloat16hLNS_18Fp8KVCacheDataTypeE1ELi320ELi64EEEvPKT0_PT_PKiS9_S9_iillllPKfS9_,"axG",@progbits,_ZN4vllm30gather_and_maybe_dequant_cacheI14__hip_bfloat16hLNS_18Fp8KVCacheDataTypeE1ELi320ELi64EEEvPKT0_PT_PKiS9_S9_iillllPKfS9_,comdat
	.protected	_ZN4vllm30gather_and_maybe_dequant_cacheI14__hip_bfloat16hLNS_18Fp8KVCacheDataTypeE1ELi320ELi64EEEvPKT0_PT_PKiS9_S9_iillllPKfS9_ ; -- Begin function _ZN4vllm30gather_and_maybe_dequant_cacheI14__hip_bfloat16hLNS_18Fp8KVCacheDataTypeE1ELi320ELi64EEEvPKT0_PT_PKiS9_S9_iillllPKfS9_
	.globl	_ZN4vllm30gather_and_maybe_dequant_cacheI14__hip_bfloat16hLNS_18Fp8KVCacheDataTypeE1ELi320ELi64EEEvPKT0_PT_PKiS9_S9_iillllPKfS9_
	.p2align	8
	.type	_ZN4vllm30gather_and_maybe_dequant_cacheI14__hip_bfloat16hLNS_18Fp8KVCacheDataTypeE1ELi320ELi64EEEvPKT0_PT_PKiS9_S9_iillllPKfS9_,@function
_ZN4vllm30gather_and_maybe_dequant_cacheI14__hip_bfloat16hLNS_18Fp8KVCacheDataTypeE1ELi320ELi64EEEvPKT0_PT_PKiS9_S9_iillllPKfS9_: ; @_ZN4vllm30gather_and_maybe_dequant_cacheI14__hip_bfloat16hLNS_18Fp8KVCacheDataTypeE1ELi320ELi64EEEvPKT0_PT_PKiS9_S9_iillllPKfS9_
; %bb.0:
	s_mov_b64 s[24:25], s[0:1]
	s_load_dword s0, s[0:1], 0x6c
	s_mov_b32 s22, s2
	s_add_u32 s34, s24, 0x60
	v_mov_b32_e32 v42, v0
	s_addc_u32 s35, s25, 0
	s_waitcnt lgkmcnt(0)
	v_cmp_eq_u16_e64 s[2:3], s0, 64
	s_mov_b64 s[0:1], -1
	s_and_b64 vcc, exec, s[2:3]
	s_mov_b32 s32, 0
	s_cbranch_vccnz .LBB50_2
; %bb.1:
	s_add_u32 s8, s24, 0x60
	s_addc_u32 s9, s25, 0
	s_getpc_b64 s[0:1]
	s_add_u32 s0, s0, .str.2@rel32@lo+4
	s_addc_u32 s1, s1, .str.2@rel32@hi+12
	s_getpc_b64 s[2:3]
	s_add_u32 s2, s2, .str.3@rel32@lo+4
	s_addc_u32 s3, s3, .str.3@rel32@hi+12
	s_getpc_b64 s[4:5]
	s_add_u32 s4, s4, __PRETTY_FUNCTION__._ZN4vllm30gather_and_maybe_dequant_cacheI14__hip_bfloat16hLNS_18Fp8KVCacheDataTypeE1ELi320ELi64EEEvPKT0_PT_PKiS9_S9_iillllPKfS9_@rel32@lo+4
	s_addc_u32 s5, s5, __PRETTY_FUNCTION__._ZN4vllm30gather_and_maybe_dequant_cacheI14__hip_bfloat16hLNS_18Fp8KVCacheDataTypeE1ELi320ELi64EEEvPKT0_PT_PKiS9_S9_iillllPKfS9_@rel32@hi+12
	v_mov_b32_e32 v0, s0
	v_mov_b32_e32 v1, s1
	;; [unrolled: 1-line block ×7, first 2 shown]
	s_getpc_b64 s[6:7]
	s_add_u32 s6, s6, __assert_fail@rel32@lo+4
	s_addc_u32 s7, s7, __assert_fail@rel32@hi+12
	s_swappc_b64 s[30:31], s[6:7]
	s_mov_b64 s[0:1], 0
	; divergent unreachable
.LBB50_2:
	s_andn2_b64 vcc, exec, s[0:1]
	s_cbranch_vccnz .LBB50_44
; %bb.3:
	s_load_dwordx2 s[20:21], s[24:25], 0x28
	s_waitcnt lgkmcnt(0)
	s_cmp_ge_i32 s22, s20
	s_cbranch_scc1 .LBB50_44
; %bb.4:
	s_load_dwordx4 s[28:31], s[24:25], 0x50
	s_load_dwordx8 s[4:11], s[24:25], 0x0
	s_load_dwordx2 s[26:27], s[24:25], 0x20
	s_load_dword s33, s[34:35], 0x0
	v_mov_b32_e32 v1, 0
	s_waitcnt lgkmcnt(0)
	s_cmp_lg_u64 s[30:31], 0
	s_cselect_b64 s[2:3], -1, 0
	s_abs_i32 s38, s21
	v_cvt_f32_u32_e32 v0, s38
	s_load_dwordx8 s[12:19], s[24:25], 0x30
	v_cmp_gt_u32_e64 s[0:1], 40, v42
	s_waitcnt lgkmcnt(0)
	s_ashr_i32 s13, s21, 31
	v_rcp_iflag_f32_e32 v4, v0
	v_lshlrev_b32_e32 v0, 4, v42
	v_lshl_add_u64 v[2:3], s[6:7], 0, v[0:1]
	s_sub_i32 s6, 0, s38
	v_mul_f32_e32 v0, 0x4f7ffffe, v4
	v_cvt_u32_f32_e32 v0, v0
	v_cndmask_b32_e64 v4, 0, 1, s[2:3]
	v_cmp_ne_u32_e64 s[2:3], 1, v4
	s_mov_b32 s40, 0x7f800000
	v_readfirstlane_b32 s7, v0
	s_mul_i32 s6, s6, s7
	s_mul_hi_u32 s6, s7, s6
	s_add_i32 s39, s7, s6
	v_lshlrev_b32_e32 v0, 3, v42
	s_movk_i32 s41, 0x7fff
	s_mov_b32 s42, 0x7060302
	s_branch .LBB50_8
.LBB50_5:                               ;   in Loop: Header=BB50_8 Depth=1
	s_or_b64 exec, exec, s[24:25]
	s_mul_i32 s24, s22, s19
	s_mul_hi_u32 s25, s22, s18
	s_add_i32 s24, s25, s24
	s_mul_i32 s23, s23, s18
	s_add_i32 s25, s24, s23
	s_mul_i32 s24, s22, s18
	v_lshl_add_u64 v[12:13], s[24:25], 1, v[2:3]
	v_perm_b32 v11, v5, v11, s42
	v_perm_b32 v10, v10, v9, s42
	;; [unrolled: 1-line block ×4, first 2 shown]
	global_store_dwordx4 v[12:13], v[8:11], off
.LBB50_6:                               ;   in Loop: Header=BB50_8 Depth=1
	s_or_b64 exec, exec, s[6:7]
	s_add_i32 s22, s22, s33
	s_cmp_ge_i32 s22, s20
	s_cselect_b64 s[36:37], -1, 0
.LBB50_7:                               ;   in Loop: Header=BB50_8 Depth=1
	s_and_b64 vcc, exec, s[36:37]
	s_cbranch_vccnz .LBB50_44
.LBB50_8:                               ; =>This Inner Loop Header: Depth=1
	s_ashr_i32 s23, s22, 31
	s_lshl_b64 s[6:7], s[22:23], 2
	s_add_u32 s6, s26, s6
	s_addc_u32 s7, s27, s7
	s_load_dword s24, s[6:7], 0x0
	s_mov_b64 s[36:37], -1
	s_waitcnt lgkmcnt(0)
	s_ashr_i32 s25, s24, 31
	s_lshl_b64 s[6:7], s[24:25], 2
	s_add_u32 s34, s10, s6
	s_addc_u32 s35, s11, s7
	s_load_dwordx2 s[34:35], s[34:35], 0x0
	s_waitcnt lgkmcnt(0)
	s_cmp_ge_i32 s22, s35
	s_cbranch_scc1 .LBB50_7
; %bb.9:                                ;   in Loop: Header=BB50_8 Depth=1
	s_and_b64 vcc, exec, s[2:3]
	s_cbranch_vccnz .LBB50_11
; %bb.10:                               ;   in Loop: Header=BB50_8 Depth=1
	s_add_u32 s6, s30, s6
	s_addc_u32 s7, s31, s7
	s_load_dword s25, s[6:7], 0x0
	s_and_saveexec_b64 s[6:7], s[0:1]
	s_cbranch_execz .LBB50_6
	s_branch .LBB50_12
.LBB50_11:                              ;   in Loop: Header=BB50_8 Depth=1
	s_mov_b32 s25, 0
	s_and_saveexec_b64 s[6:7], s[0:1]
	s_cbranch_execz .LBB50_6
.LBB50_12:                              ;   in Loop: Header=BB50_8 Depth=1
	s_waitcnt lgkmcnt(0)
	s_sub_i32 s25, s25, s34
	s_add_i32 s34, s22, s25
	s_abs_i32 s35, s34
	s_mul_hi_u32 s36, s35, s39
	s_mul_i32 s37, s36, s38
	s_ashr_i32 s25, s34, 31
	s_sub_i32 s35, s35, s37
	s_xor_b32 s25, s25, s13
	s_add_i32 s37, s36, 1
	s_sub_i32 s43, s35, s38
	s_cmp_ge_u32 s35, s38
	s_cselect_b32 s36, s37, s36
	s_cselect_b32 s35, s43, s35
	s_add_i32 s37, s36, 1
	s_cmp_ge_u32 s35, s38
	s_cselect_b32 s35, s37, s36
	s_xor_b32 s35, s35, s25
	s_sub_i32 s35, s35, s25
	s_mul_i32 s24, s24, s12
	s_add_i32 s24, s35, s24
	s_ashr_i32 s25, s24, 31
	s_lshl_b64 s[24:25], s[24:25], 2
	s_add_u32 s24, s8, s24
	s_addc_u32 s25, s9, s25
	s_load_dword s24, s[24:25], 0x0
	s_mul_i32 s35, s35, s21
	s_waitcnt lgkmcnt(0)
	s_ashr_i32 s25, s24, 31
	s_mul_i32 s36, s24, s15
	s_mul_hi_u32 s37, s24, s14
	s_add_i32 s36, s37, s36
	s_mul_i32 s25, s25, s14
	s_add_i32 s36, s36, s25
	s_mul_i32 s24, s24, s14
	s_add_u32 s24, s4, s24
	s_addc_u32 s25, s5, s36
	s_sub_i32 s34, s34, s35
	s_ashr_i32 s35, s34, 31
	s_mul_i32 s36, s34, s17
	s_mul_hi_u32 s37, s34, s16
	s_add_i32 s36, s37, s36
	s_mul_i32 s35, s35, s16
	s_add_i32 s36, s36, s35
	s_mul_i32 s34, s34, s16
	s_add_u32 s24, s24, s34
	s_addc_u32 s25, s25, s36
	global_load_dwordx2 v[4:5], v0, s[24:25]
	s_load_dword s34, s[28:29], 0x0
	s_waitcnt vmcnt(0)
	v_and_b32_e32 v6, 0xff, v4
	v_cvt_f32_fp8_sdwa v6, v6 src0_sel:BYTE_0
	s_waitcnt lgkmcnt(0)
	v_mul_f32_e32 v7, s34, v6
	v_and_b32_e32 v6, 0x7f800000, v7
	v_cmp_ne_u32_e32 vcc, s40, v6
                                        ; implicit-def: $vgpr6
	s_and_saveexec_b64 s[24:25], vcc
	s_xor_b64 s[24:25], exec, s[24:25]
; %bb.13:                               ;   in Loop: Header=BB50_8 Depth=1
	v_bfe_u32 v6, v7, 16, 1
	v_add3_u32 v6, v7, v6, s41
                                        ; implicit-def: $vgpr7
; %bb.14:                               ;   in Loop: Header=BB50_8 Depth=1
	s_andn2_saveexec_b64 s[24:25], s[24:25]
; %bb.15:                               ;   in Loop: Header=BB50_8 Depth=1
	v_or_b32_e32 v6, 0x10000, v7
	v_cmp_eq_u32_sdwa vcc, v7, v1 src0_sel:WORD_0 src1_sel:DWORD
	s_nop 1
	v_cndmask_b32_e32 v6, v6, v7, vcc
; %bb.16:                               ;   in Loop: Header=BB50_8 Depth=1
	s_or_b64 exec, exec, s[24:25]
	v_bfe_u32 v7, v4, 8, 8
	v_cvt_f32_fp8_sdwa v7, v7 src0_sel:BYTE_0
	s_nop 0
	v_mul_f32_e32 v8, s34, v7
	v_and_b32_e32 v7, 0x7f800000, v8
	v_cmp_ne_u32_e32 vcc, s40, v7
                                        ; implicit-def: $vgpr7
	s_and_saveexec_b64 s[24:25], vcc
	s_xor_b64 s[24:25], exec, s[24:25]
; %bb.17:                               ;   in Loop: Header=BB50_8 Depth=1
	v_bfe_u32 v7, v8, 16, 1
	v_add3_u32 v7, v8, v7, s41
                                        ; implicit-def: $vgpr8
; %bb.18:                               ;   in Loop: Header=BB50_8 Depth=1
	s_andn2_saveexec_b64 s[24:25], s[24:25]
; %bb.19:                               ;   in Loop: Header=BB50_8 Depth=1
	v_or_b32_e32 v7, 0x10000, v8
	v_cmp_eq_u32_sdwa vcc, v8, v1 src0_sel:WORD_0 src1_sel:DWORD
	s_nop 1
	v_cndmask_b32_e32 v7, v7, v8, vcc
; %bb.20:                               ;   in Loop: Header=BB50_8 Depth=1
	s_or_b64 exec, exec, s[24:25]
	v_bfe_u32 v8, v4, 16, 8
	v_cvt_f32_fp8_sdwa v8, v8 src0_sel:BYTE_0
	s_nop 0
	v_mul_f32_e32 v9, s34, v8
	v_and_b32_e32 v8, 0x7f800000, v9
	v_cmp_ne_u32_e32 vcc, s40, v8
                                        ; implicit-def: $vgpr8
	s_and_saveexec_b64 s[24:25], vcc
	s_xor_b64 s[24:25], exec, s[24:25]
; %bb.21:                               ;   in Loop: Header=BB50_8 Depth=1
	v_bfe_u32 v8, v9, 16, 1
	v_add3_u32 v8, v9, v8, s41
                                        ; implicit-def: $vgpr9
; %bb.22:                               ;   in Loop: Header=BB50_8 Depth=1
	s_andn2_saveexec_b64 s[24:25], s[24:25]
; %bb.23:                               ;   in Loop: Header=BB50_8 Depth=1
	v_or_b32_e32 v8, 0x10000, v9
	v_cmp_eq_u32_sdwa vcc, v9, v1 src0_sel:WORD_0 src1_sel:DWORD
	s_nop 1
	v_cndmask_b32_e32 v8, v8, v9, vcc
; %bb.24:                               ;   in Loop: Header=BB50_8 Depth=1
	s_or_b64 exec, exec, s[24:25]
	v_lshrrev_b32_e32 v4, 24, v4
	v_cvt_f32_fp8_sdwa v4, v4 src0_sel:BYTE_0
	s_nop 0
	v_mul_f32_e32 v9, s34, v4
	v_and_b32_e32 v4, 0x7f800000, v9
	v_cmp_ne_u32_e32 vcc, s40, v4
                                        ; implicit-def: $vgpr4
	s_and_saveexec_b64 s[24:25], vcc
	s_xor_b64 s[24:25], exec, s[24:25]
; %bb.25:                               ;   in Loop: Header=BB50_8 Depth=1
	v_bfe_u32 v4, v9, 16, 1
	v_add3_u32 v4, v9, v4, s41
                                        ; implicit-def: $vgpr9
; %bb.26:                               ;   in Loop: Header=BB50_8 Depth=1
	s_andn2_saveexec_b64 s[24:25], s[24:25]
; %bb.27:                               ;   in Loop: Header=BB50_8 Depth=1
	v_or_b32_e32 v4, 0x10000, v9
	v_cmp_eq_u32_sdwa vcc, v9, v1 src0_sel:WORD_0 src1_sel:DWORD
	s_nop 1
	v_cndmask_b32_e32 v4, v4, v9, vcc
; %bb.28:                               ;   in Loop: Header=BB50_8 Depth=1
	s_or_b64 exec, exec, s[24:25]
	v_and_b32_e32 v9, 0xff, v5
	v_cvt_f32_fp8_sdwa v9, v9 src0_sel:BYTE_0
	s_nop 0
	v_mul_f32_e32 v10, s34, v9
	v_and_b32_e32 v9, 0x7f800000, v10
	v_cmp_ne_u32_e32 vcc, s40, v9
                                        ; implicit-def: $vgpr9
	s_and_saveexec_b64 s[24:25], vcc
	s_xor_b64 s[24:25], exec, s[24:25]
; %bb.29:                               ;   in Loop: Header=BB50_8 Depth=1
	v_bfe_u32 v9, v10, 16, 1
	v_add3_u32 v9, v10, v9, s41
                                        ; implicit-def: $vgpr10
; %bb.30:                               ;   in Loop: Header=BB50_8 Depth=1
	s_andn2_saveexec_b64 s[24:25], s[24:25]
; %bb.31:                               ;   in Loop: Header=BB50_8 Depth=1
	v_or_b32_e32 v9, 0x10000, v10
	v_cmp_eq_u32_sdwa vcc, v10, v1 src0_sel:WORD_0 src1_sel:DWORD
	s_nop 1
	v_cndmask_b32_e32 v9, v9, v10, vcc
; %bb.32:                               ;   in Loop: Header=BB50_8 Depth=1
	s_or_b64 exec, exec, s[24:25]
	v_bfe_u32 v10, v5, 8, 8
	v_cvt_f32_fp8_sdwa v10, v10 src0_sel:BYTE_0
	s_nop 0
	v_mul_f32_e32 v11, s34, v10
	v_and_b32_e32 v10, 0x7f800000, v11
	v_cmp_ne_u32_e32 vcc, s40, v10
                                        ; implicit-def: $vgpr10
	s_and_saveexec_b64 s[24:25], vcc
	s_xor_b64 s[24:25], exec, s[24:25]
; %bb.33:                               ;   in Loop: Header=BB50_8 Depth=1
	v_bfe_u32 v10, v11, 16, 1
	v_add3_u32 v10, v11, v10, s41
                                        ; implicit-def: $vgpr11
; %bb.34:                               ;   in Loop: Header=BB50_8 Depth=1
	s_andn2_saveexec_b64 s[24:25], s[24:25]
; %bb.35:                               ;   in Loop: Header=BB50_8 Depth=1
	v_or_b32_e32 v10, 0x10000, v11
	v_cmp_eq_u32_sdwa vcc, v11, v1 src0_sel:WORD_0 src1_sel:DWORD
	s_nop 1
	v_cndmask_b32_e32 v10, v10, v11, vcc
; %bb.36:                               ;   in Loop: Header=BB50_8 Depth=1
	s_or_b64 exec, exec, s[24:25]
	v_bfe_u32 v11, v5, 16, 8
	v_cvt_f32_fp8_sdwa v11, v11 src0_sel:BYTE_0
	s_nop 0
	v_mul_f32_e32 v12, s34, v11
	v_and_b32_e32 v11, 0x7f800000, v12
	v_cmp_ne_u32_e32 vcc, s40, v11
                                        ; implicit-def: $vgpr11
	s_and_saveexec_b64 s[24:25], vcc
	s_xor_b64 s[24:25], exec, s[24:25]
; %bb.37:                               ;   in Loop: Header=BB50_8 Depth=1
	v_bfe_u32 v11, v12, 16, 1
	v_add3_u32 v11, v12, v11, s41
                                        ; implicit-def: $vgpr12
; %bb.38:                               ;   in Loop: Header=BB50_8 Depth=1
	s_andn2_saveexec_b64 s[24:25], s[24:25]
; %bb.39:                               ;   in Loop: Header=BB50_8 Depth=1
	v_or_b32_e32 v11, 0x10000, v12
	v_cmp_eq_u32_sdwa vcc, v12, v1 src0_sel:WORD_0 src1_sel:DWORD
	s_nop 1
	v_cndmask_b32_e32 v11, v11, v12, vcc
; %bb.40:                               ;   in Loop: Header=BB50_8 Depth=1
	s_or_b64 exec, exec, s[24:25]
	v_lshrrev_b32_e32 v5, 24, v5
	v_cvt_f32_fp8_sdwa v5, v5 src0_sel:BYTE_0
	s_nop 0
	v_mul_f32_e32 v12, s34, v5
	v_and_b32_e32 v5, 0x7f800000, v12
	v_cmp_ne_u32_e32 vcc, s40, v5
                                        ; implicit-def: $vgpr5
	s_and_saveexec_b64 s[24:25], vcc
	s_xor_b64 s[24:25], exec, s[24:25]
; %bb.41:                               ;   in Loop: Header=BB50_8 Depth=1
	v_bfe_u32 v5, v12, 16, 1
	v_add3_u32 v5, v12, v5, s41
                                        ; implicit-def: $vgpr12
; %bb.42:                               ;   in Loop: Header=BB50_8 Depth=1
	s_andn2_saveexec_b64 s[24:25], s[24:25]
	s_cbranch_execz .LBB50_5
; %bb.43:                               ;   in Loop: Header=BB50_8 Depth=1
	v_or_b32_e32 v5, 0x10000, v12
	v_cmp_eq_u32_sdwa vcc, v12, v1 src0_sel:WORD_0 src1_sel:DWORD
	s_nop 1
	v_cndmask_b32_e32 v5, v5, v12, vcc
	s_branch .LBB50_5
.LBB50_44:
	s_endpgm
	.section	.rodata,"a",@progbits
	.p2align	6, 0x0
	.amdhsa_kernel _ZN4vllm30gather_and_maybe_dequant_cacheI14__hip_bfloat16hLNS_18Fp8KVCacheDataTypeE1ELi320ELi64EEEvPKT0_PT_PKiS9_S9_iillllPKfS9_
		.amdhsa_group_segment_fixed_size 0
		.amdhsa_private_segment_fixed_size 64
		.amdhsa_kernarg_size 352
		.amdhsa_user_sgpr_count 2
		.amdhsa_user_sgpr_dispatch_ptr 0
		.amdhsa_user_sgpr_queue_ptr 0
		.amdhsa_user_sgpr_kernarg_segment_ptr 1
		.amdhsa_user_sgpr_dispatch_id 0
		.amdhsa_user_sgpr_kernarg_preload_length 0
		.amdhsa_user_sgpr_kernarg_preload_offset 0
		.amdhsa_user_sgpr_private_segment_size 0
		.amdhsa_uses_dynamic_stack 0
		.amdhsa_enable_private_segment 1
		.amdhsa_system_sgpr_workgroup_id_x 1
		.amdhsa_system_sgpr_workgroup_id_y 0
		.amdhsa_system_sgpr_workgroup_id_z 0
		.amdhsa_system_sgpr_workgroup_info 0
		.amdhsa_system_vgpr_workitem_id 0
		.amdhsa_next_free_vgpr 53
		.amdhsa_next_free_sgpr 44
		.amdhsa_accum_offset 56
		.amdhsa_reserve_vcc 1
		.amdhsa_float_round_mode_32 0
		.amdhsa_float_round_mode_16_64 0
		.amdhsa_float_denorm_mode_32 3
		.amdhsa_float_denorm_mode_16_64 3
		.amdhsa_dx10_clamp 1
		.amdhsa_ieee_mode 1
		.amdhsa_fp16_overflow 0
		.amdhsa_tg_split 0
		.amdhsa_exception_fp_ieee_invalid_op 0
		.amdhsa_exception_fp_denorm_src 0
		.amdhsa_exception_fp_ieee_div_zero 0
		.amdhsa_exception_fp_ieee_overflow 0
		.amdhsa_exception_fp_ieee_underflow 0
		.amdhsa_exception_fp_ieee_inexact 0
		.amdhsa_exception_int_div_zero 0
	.end_amdhsa_kernel
	.section	.text._ZN4vllm30gather_and_maybe_dequant_cacheI14__hip_bfloat16hLNS_18Fp8KVCacheDataTypeE1ELi320ELi64EEEvPKT0_PT_PKiS9_S9_iillllPKfS9_,"axG",@progbits,_ZN4vllm30gather_and_maybe_dequant_cacheI14__hip_bfloat16hLNS_18Fp8KVCacheDataTypeE1ELi320ELi64EEEvPKT0_PT_PKiS9_S9_iillllPKfS9_,comdat
.Lfunc_end50:
	.size	_ZN4vllm30gather_and_maybe_dequant_cacheI14__hip_bfloat16hLNS_18Fp8KVCacheDataTypeE1ELi320ELi64EEEvPKT0_PT_PKiS9_S9_iillllPKfS9_, .Lfunc_end50-_ZN4vllm30gather_and_maybe_dequant_cacheI14__hip_bfloat16hLNS_18Fp8KVCacheDataTypeE1ELi320ELi64EEEvPKT0_PT_PKiS9_S9_iillllPKfS9_
                                        ; -- End function
	.section	.AMDGPU.csdata,"",@progbits
; Kernel info:
; codeLenInByte = 1556
; NumSgprs: 50
; NumVgprs: 53
; NumAgprs: 0
; TotalNumVgprs: 53
; ScratchSize: 64
; MemoryBound: 0
; FloatMode: 240
; IeeeMode: 1
; LDSByteSize: 0 bytes/workgroup (compile time only)
; SGPRBlocks: 6
; VGPRBlocks: 6
; NumSGPRsForWavesPerEU: 50
; NumVGPRsForWavesPerEU: 53
; AccumOffset: 56
; Occupancy: 8
; WaveLimiterHint : 1
; COMPUTE_PGM_RSRC2:SCRATCH_EN: 1
; COMPUTE_PGM_RSRC2:USER_SGPR: 2
; COMPUTE_PGM_RSRC2:TRAP_HANDLER: 0
; COMPUTE_PGM_RSRC2:TGID_X_EN: 1
; COMPUTE_PGM_RSRC2:TGID_Y_EN: 0
; COMPUTE_PGM_RSRC2:TGID_Z_EN: 0
; COMPUTE_PGM_RSRC2:TIDIG_COMP_CNT: 0
; COMPUTE_PGM_RSRC3_GFX90A:ACCUM_OFFSET: 13
; COMPUTE_PGM_RSRC3_GFX90A:TG_SPLIT: 0
	.section	.text._ZN4vllm15cp_gather_cacheIjEEvPKT_PS1_PKiS6_iillllS6_,"axG",@progbits,_ZN4vllm15cp_gather_cacheIjEEvPKT_PS1_PKiS6_iillllS6_,comdat
	.protected	_ZN4vllm15cp_gather_cacheIjEEvPKT_PS1_PKiS6_iillllS6_ ; -- Begin function _ZN4vllm15cp_gather_cacheIjEEvPKT_PS1_PKiS6_iillllS6_
	.globl	_ZN4vllm15cp_gather_cacheIjEEvPKT_PS1_PKiS6_iillllS6_
	.p2align	8
	.type	_ZN4vllm15cp_gather_cacheIjEEvPKT_PS1_PKiS6_iillllS6_,@function
_ZN4vllm15cp_gather_cacheIjEEvPKT_PS1_PKiS6_iillllS6_: ; @_ZN4vllm15cp_gather_cacheIjEEvPKT_PS1_PKiS6_iillllS6_
; %bb.0:
	s_load_dwordx2 s[8:9], s[0:1], 0x18
	s_load_dword s5, s[0:1], 0x54
	s_mov_b32 s4, s3
	s_mov_b32 s3, 0
	s_add_u32 s16, s0, 0x50
	s_addc_u32 s17, s1, 0
	s_lshl_b64 s[6:7], s[2:3], 2
	s_waitcnt lgkmcnt(0)
	s_add_u32 s8, s8, s6
	s_addc_u32 s9, s9, s7
	s_abs_i32 s3, s5
	v_cvt_f32_u32_e32 v1, s3
	s_load_dwordx2 s[20:21], s[8:9], 0x0
	s_sub_i32 s10, 0, s3
	v_rcp_iflag_f32_e32 v1, v1
	s_waitcnt lgkmcnt(0)
	s_sub_i32 s8, s21, s20
	s_add_i32 s9, s5, s8
	v_mul_f32_e32 v1, 0x4f7ffffe, v1
	v_cvt_u32_f32_e32 v1, v1
	s_add_i32 s9, s9, -1
	s_xor_b32 s5, s9, s5
	s_abs_i32 s9, s9
	v_readfirstlane_b32 s11, v1
	s_mul_i32 s10, s10, s11
	s_mul_hi_u32 s10, s11, s10
	s_add_i32 s11, s11, s10
	s_mul_hi_u32 s10, s9, s11
	s_mul_i32 s11, s10, s3
	s_sub_i32 s9, s9, s11
	s_ashr_i32 s5, s5, 31
	s_add_i32 s11, s10, 1
	s_sub_i32 s12, s9, s3
	s_cmp_ge_u32 s9, s3
	s_cselect_b32 s10, s11, s10
	s_cselect_b32 s9, s12, s9
	s_add_i32 s11, s10, 1
	s_cmp_ge_u32 s9, s3
	s_cselect_b32 s3, s11, s10
	s_xor_b32 s3, s3, s5
	s_sub_i32 s9, s3, s5
	s_mul_i32 s24, s9, s4
	s_cmp_ge_i32 s24, s8
	s_cbranch_scc1 .LBB51_9
; %bb.1:
	s_load_dwordx2 s[4:5], s[0:1], 0x48
	s_mov_b32 s3, s24
	s_waitcnt lgkmcnt(0)
	s_cmp_eq_u64 s[4:5], 0
	s_cbranch_scc1 .LBB51_3
; %bb.2:
	s_add_u32 s4, s4, s6
	s_addc_u32 s5, s5, s7
	s_load_dword s3, s[4:5], 0x0
	s_waitcnt lgkmcnt(0)
	s_add_i32 s3, s3, s24
.LBB51_3:
	s_add_i32 s4, s24, s9
	s_min_i32 s25, s4, s8
	s_cmp_ge_i32 s24, s25
	s_cbranch_scc1 .LBB51_9
; %bb.4:
	s_load_dwordx8 s[4:11], s[0:1], 0x28
	s_load_dwordx4 s[12:15], s[0:1], 0x0
	s_load_dwordx2 s[22:23], s[0:1], 0x10
	s_load_dwordx2 s[18:19], s[0:1], 0x20
	s_waitcnt lgkmcnt(0)
	s_mul_i32 s0, s2, s4
	s_ashr_i32 s1, s0, 31
	s_lshl_b64 s[0:1], s[0:1], 2
	s_add_u32 s26, s22, s0
	s_addc_u32 s27, s23, s1
	s_ashr_i32 s0, s20, 31
	s_mul_i32 s1, s20, s11
	s_mul_hi_u32 s2, s20, s10
	s_add_i32 s1, s2, s1
	s_mul_i32 s0, s0, s10
	s_add_i32 s1, s1, s0
	s_mul_i32 s0, s20, s10
	s_lshl_b64 s[0:1], s[0:1], 2
	s_add_u32 s28, s14, s0
	s_addc_u32 s29, s15, s1
	s_abs_i32 s0, s18
	v_cvt_f32_u32_e32 v1, s0
	s_sub_i32 s4, 0, s0
	s_abs_i32 s2, s3
	s_xor_b32 s1, s3, s18
	v_rcp_iflag_f32_e32 v1, v1
	s_ashr_i32 s1, s1, 31
	v_cmp_gt_i32_e32 vcc, s19, v0
	v_mul_f32_e32 v1, 0x4f7ffffe, v1
	v_cvt_u32_f32_e32 v1, v1
	s_nop 0
	v_readfirstlane_b32 s5, v1
	s_mul_i32 s4, s4, s5
	s_mul_hi_u32 s4, s5, s4
	s_add_i32 s5, s5, s4
	s_mul_hi_u32 s4, s2, s5
	s_mul_i32 s5, s4, s0
	s_sub_i32 s2, s2, s5
	s_add_i32 s5, s4, 1
	s_sub_i32 s14, s2, s0
	s_cmp_ge_u32 s2, s0
	s_cselect_b32 s4, s5, s4
	s_cselect_b32 s2, s14, s2
	s_add_i32 s5, s4, 1
	s_cmp_ge_u32 s2, s0
	s_cselect_b32 s0, s5, s4
	s_xor_b32 s0, s0, s1
	s_sub_i32 s2, s0, s1
	s_mul_i32 s0, s2, s18
	s_sub_i32 s30, s3, s0
	s_branch .LBB51_6
.LBB51_5:                               ;   in Loop: Header=BB51_6 Depth=1
	s_or_b64 exec, exec, s[4:5]
	s_add_i32 s3, s30, 1
	s_cmp_eq_u32 s3, s18
	s_cselect_b64 s[0:1], -1, 0
	s_and_b64 s[4:5], s[0:1], exec
	s_cselect_b32 s30, 0, s3
	s_cmp_lg_u64 s[0:1], 0
	s_addc_u32 s2, s2, 0
	s_add_i32 s24, s24, 1
	s_cmp_lt_i32 s24, s25
	s_cbranch_scc0 .LBB51_9
.LBB51_6:                               ; =>This Loop Header: Depth=1
                                        ;     Child Loop BB51_8 Depth 2
	s_and_saveexec_b64 s[4:5], vcc
	s_cbranch_execz .LBB51_5
; %bb.7:                                ;   in Loop: Header=BB51_6 Depth=1
	s_ashr_i32 s3, s2, 31
	s_lshl_b64 s[0:1], s[2:3], 2
	s_add_u32 s0, s26, s0
	s_addc_u32 s1, s27, s1
	s_load_dword s0, s[0:1], 0x0
	s_mul_hi_u32 s20, s30, s8
	s_load_dword s22, s[16:17], 0xc
	v_mov_b32_e32 v2, v0
	s_waitcnt lgkmcnt(0)
	s_ashr_i32 s1, s0, 31
	s_mul_i32 s3, s0, s7
	s_mul_hi_u32 s14, s0, s6
	s_add_i32 s3, s14, s3
	s_mul_i32 s1, s1, s6
	s_mul_i32 s0, s0, s6
	s_add_i32 s1, s3, s1
	s_lshl_b64 s[0:1], s[0:1], 2
	s_add_u32 s3, s12, s0
	s_addc_u32 s21, s13, s1
	s_ashr_i32 s0, s24, 31
	s_mul_i32 s1, s24, s11
	s_mul_hi_u32 s14, s24, s10
	s_add_i32 s1, s14, s1
	s_mul_i32 s0, s0, s10
	s_add_i32 s1, s1, s0
	s_mul_i32 s0, s24, s10
	s_lshl_b64 s[0:1], s[0:1], 2
	s_add_u32 s14, s28, s0
	s_addc_u32 s15, s29, s1
	s_ashr_i32 s0, s30, 31
	s_mul_i32 s1, s30, s9
	s_add_i32 s1, s20, s1
	s_mul_i32 s0, s0, s8
	s_add_i32 s1, s1, s0
	s_mul_i32 s0, s30, s8
	s_lshl_b64 s[0:1], s[0:1], 2
	s_add_u32 s20, s3, s0
	s_addc_u32 s21, s21, s1
	s_and_b32 s3, s22, 0xffff
	s_mov_b64 s[22:23], 0
.LBB51_8:                               ;   Parent Loop BB51_6 Depth=1
                                        ; =>  This Inner Loop Header: Depth=2
	v_ashrrev_i32_e32 v3, 31, v2
	v_lshlrev_b64 v[4:5], 2, v[2:3]
	v_lshl_add_u64 v[6:7], s[20:21], 0, v[4:5]
	global_load_dword v1, v[6:7], off
	v_add_u32_e32 v2, s3, v2
	v_cmp_le_i32_e64 s[0:1], s19, v2
	v_lshl_add_u64 v[4:5], s[14:15], 0, v[4:5]
	s_or_b64 s[22:23], s[0:1], s[22:23]
	s_waitcnt vmcnt(0)
	global_store_dword v[4:5], v1, off
	s_andn2_b64 exec, exec, s[22:23]
	s_cbranch_execnz .LBB51_8
	s_branch .LBB51_5
.LBB51_9:
	s_endpgm
	.section	.rodata,"a",@progbits
	.p2align	6, 0x0
	.amdhsa_kernel _ZN4vllm15cp_gather_cacheIjEEvPKT_PS1_PKiS6_iillllS6_
		.amdhsa_group_segment_fixed_size 0
		.amdhsa_private_segment_fixed_size 0
		.amdhsa_kernarg_size 336
		.amdhsa_user_sgpr_count 2
		.amdhsa_user_sgpr_dispatch_ptr 0
		.amdhsa_user_sgpr_queue_ptr 0
		.amdhsa_user_sgpr_kernarg_segment_ptr 1
		.amdhsa_user_sgpr_dispatch_id 0
		.amdhsa_user_sgpr_kernarg_preload_length 0
		.amdhsa_user_sgpr_kernarg_preload_offset 0
		.amdhsa_user_sgpr_private_segment_size 0
		.amdhsa_uses_dynamic_stack 0
		.amdhsa_enable_private_segment 0
		.amdhsa_system_sgpr_workgroup_id_x 1
		.amdhsa_system_sgpr_workgroup_id_y 1
		.amdhsa_system_sgpr_workgroup_id_z 0
		.amdhsa_system_sgpr_workgroup_info 0
		.amdhsa_system_vgpr_workitem_id 0
		.amdhsa_next_free_vgpr 8
		.amdhsa_next_free_sgpr 31
		.amdhsa_accum_offset 8
		.amdhsa_reserve_vcc 1
		.amdhsa_float_round_mode_32 0
		.amdhsa_float_round_mode_16_64 0
		.amdhsa_float_denorm_mode_32 3
		.amdhsa_float_denorm_mode_16_64 3
		.amdhsa_dx10_clamp 1
		.amdhsa_ieee_mode 1
		.amdhsa_fp16_overflow 0
		.amdhsa_tg_split 0
		.amdhsa_exception_fp_ieee_invalid_op 0
		.amdhsa_exception_fp_denorm_src 0
		.amdhsa_exception_fp_ieee_div_zero 0
		.amdhsa_exception_fp_ieee_overflow 0
		.amdhsa_exception_fp_ieee_underflow 0
		.amdhsa_exception_fp_ieee_inexact 0
		.amdhsa_exception_int_div_zero 0
	.end_amdhsa_kernel
	.section	.text._ZN4vllm15cp_gather_cacheIjEEvPKT_PS1_PKiS6_iillllS6_,"axG",@progbits,_ZN4vllm15cp_gather_cacheIjEEvPKT_PS1_PKiS6_iillllS6_,comdat
.Lfunc_end51:
	.size	_ZN4vllm15cp_gather_cacheIjEEvPKT_PS1_PKiS6_iillllS6_, .Lfunc_end51-_ZN4vllm15cp_gather_cacheIjEEvPKT_PS1_PKiS6_iillllS6_
                                        ; -- End function
	.section	.AMDGPU.csdata,"",@progbits
; Kernel info:
; codeLenInByte = 788
; NumSgprs: 37
; NumVgprs: 8
; NumAgprs: 0
; TotalNumVgprs: 8
; ScratchSize: 0
; MemoryBound: 0
; FloatMode: 240
; IeeeMode: 1
; LDSByteSize: 0 bytes/workgroup (compile time only)
; SGPRBlocks: 4
; VGPRBlocks: 0
; NumSGPRsForWavesPerEU: 37
; NumVGPRsForWavesPerEU: 8
; AccumOffset: 8
; Occupancy: 8
; WaveLimiterHint : 1
; COMPUTE_PGM_RSRC2:SCRATCH_EN: 0
; COMPUTE_PGM_RSRC2:USER_SGPR: 2
; COMPUTE_PGM_RSRC2:TRAP_HANDLER: 0
; COMPUTE_PGM_RSRC2:TGID_X_EN: 1
; COMPUTE_PGM_RSRC2:TGID_Y_EN: 1
; COMPUTE_PGM_RSRC2:TGID_Z_EN: 0
; COMPUTE_PGM_RSRC2:TIDIG_COMP_CNT: 0
; COMPUTE_PGM_RSRC3_GFX90A:ACCUM_OFFSET: 1
; COMPUTE_PGM_RSRC3_GFX90A:TG_SPLIT: 0
	.section	.text._ZN4vllm15cp_gather_cacheItEEvPKT_PS1_PKiS6_iillllS6_,"axG",@progbits,_ZN4vllm15cp_gather_cacheItEEvPKT_PS1_PKiS6_iillllS6_,comdat
	.protected	_ZN4vllm15cp_gather_cacheItEEvPKT_PS1_PKiS6_iillllS6_ ; -- Begin function _ZN4vllm15cp_gather_cacheItEEvPKT_PS1_PKiS6_iillllS6_
	.globl	_ZN4vllm15cp_gather_cacheItEEvPKT_PS1_PKiS6_iillllS6_
	.p2align	8
	.type	_ZN4vllm15cp_gather_cacheItEEvPKT_PS1_PKiS6_iillllS6_,@function
_ZN4vllm15cp_gather_cacheItEEvPKT_PS1_PKiS6_iillllS6_: ; @_ZN4vllm15cp_gather_cacheItEEvPKT_PS1_PKiS6_iillllS6_
; %bb.0:
	s_load_dwordx2 s[8:9], s[0:1], 0x18
	s_load_dword s5, s[0:1], 0x54
	s_mov_b32 s4, s3
	s_mov_b32 s3, 0
	s_add_u32 s16, s0, 0x50
	s_addc_u32 s17, s1, 0
	s_lshl_b64 s[6:7], s[2:3], 2
	s_waitcnt lgkmcnt(0)
	s_add_u32 s8, s8, s6
	s_addc_u32 s9, s9, s7
	s_abs_i32 s3, s5
	v_cvt_f32_u32_e32 v1, s3
	s_load_dwordx2 s[20:21], s[8:9], 0x0
	s_sub_i32 s10, 0, s3
	v_rcp_iflag_f32_e32 v1, v1
	s_waitcnt lgkmcnt(0)
	s_sub_i32 s8, s21, s20
	s_add_i32 s9, s5, s8
	v_mul_f32_e32 v1, 0x4f7ffffe, v1
	v_cvt_u32_f32_e32 v1, v1
	s_add_i32 s9, s9, -1
	s_xor_b32 s5, s9, s5
	s_abs_i32 s9, s9
	v_readfirstlane_b32 s11, v1
	s_mul_i32 s10, s10, s11
	s_mul_hi_u32 s10, s11, s10
	s_add_i32 s11, s11, s10
	s_mul_hi_u32 s10, s9, s11
	s_mul_i32 s11, s10, s3
	s_sub_i32 s9, s9, s11
	s_ashr_i32 s5, s5, 31
	s_add_i32 s11, s10, 1
	s_sub_i32 s12, s9, s3
	s_cmp_ge_u32 s9, s3
	s_cselect_b32 s10, s11, s10
	s_cselect_b32 s9, s12, s9
	s_add_i32 s11, s10, 1
	s_cmp_ge_u32 s9, s3
	s_cselect_b32 s3, s11, s10
	s_xor_b32 s3, s3, s5
	s_sub_i32 s9, s3, s5
	s_mul_i32 s24, s9, s4
	s_cmp_ge_i32 s24, s8
	s_cbranch_scc1 .LBB52_9
; %bb.1:
	s_load_dwordx2 s[4:5], s[0:1], 0x48
	s_mov_b32 s3, s24
	s_waitcnt lgkmcnt(0)
	s_cmp_eq_u64 s[4:5], 0
	s_cbranch_scc1 .LBB52_3
; %bb.2:
	s_add_u32 s4, s4, s6
	s_addc_u32 s5, s5, s7
	s_load_dword s3, s[4:5], 0x0
	s_waitcnt lgkmcnt(0)
	s_add_i32 s3, s3, s24
.LBB52_3:
	s_add_i32 s4, s24, s9
	s_min_i32 s25, s4, s8
	s_cmp_ge_i32 s24, s25
	s_cbranch_scc1 .LBB52_9
; %bb.4:
	s_load_dwordx8 s[4:11], s[0:1], 0x28
	s_load_dwordx4 s[12:15], s[0:1], 0x0
	s_load_dwordx2 s[22:23], s[0:1], 0x10
	s_load_dwordx2 s[18:19], s[0:1], 0x20
	s_waitcnt lgkmcnt(0)
	s_mul_i32 s0, s2, s4
	s_ashr_i32 s1, s0, 31
	s_lshl_b64 s[0:1], s[0:1], 2
	s_add_u32 s26, s22, s0
	s_addc_u32 s27, s23, s1
	s_ashr_i32 s0, s20, 31
	s_mul_i32 s1, s20, s11
	s_mul_hi_u32 s2, s20, s10
	s_add_i32 s1, s2, s1
	s_mul_i32 s0, s0, s10
	s_add_i32 s1, s1, s0
	s_mul_i32 s0, s20, s10
	s_lshl_b64 s[0:1], s[0:1], 1
	s_add_u32 s28, s14, s0
	s_addc_u32 s29, s15, s1
	s_abs_i32 s0, s18
	v_cvt_f32_u32_e32 v1, s0
	s_sub_i32 s4, 0, s0
	s_abs_i32 s2, s3
	s_xor_b32 s1, s3, s18
	v_rcp_iflag_f32_e32 v1, v1
	s_ashr_i32 s1, s1, 31
	v_cmp_gt_i32_e32 vcc, s19, v0
	v_mul_f32_e32 v1, 0x4f7ffffe, v1
	v_cvt_u32_f32_e32 v1, v1
	s_nop 0
	v_readfirstlane_b32 s5, v1
	s_mul_i32 s4, s4, s5
	s_mul_hi_u32 s4, s5, s4
	s_add_i32 s5, s5, s4
	s_mul_hi_u32 s4, s2, s5
	s_mul_i32 s5, s4, s0
	s_sub_i32 s2, s2, s5
	s_add_i32 s5, s4, 1
	s_sub_i32 s14, s2, s0
	s_cmp_ge_u32 s2, s0
	s_cselect_b32 s4, s5, s4
	s_cselect_b32 s2, s14, s2
	s_add_i32 s5, s4, 1
	s_cmp_ge_u32 s2, s0
	s_cselect_b32 s0, s5, s4
	s_xor_b32 s0, s0, s1
	s_sub_i32 s2, s0, s1
	s_mul_i32 s0, s2, s18
	s_sub_i32 s30, s3, s0
	s_branch .LBB52_6
.LBB52_5:                               ;   in Loop: Header=BB52_6 Depth=1
	s_or_b64 exec, exec, s[4:5]
	s_add_i32 s3, s30, 1
	s_cmp_eq_u32 s3, s18
	s_cselect_b64 s[0:1], -1, 0
	s_and_b64 s[4:5], s[0:1], exec
	s_cselect_b32 s30, 0, s3
	s_cmp_lg_u64 s[0:1], 0
	s_addc_u32 s2, s2, 0
	s_add_i32 s24, s24, 1
	s_cmp_lt_i32 s24, s25
	s_cbranch_scc0 .LBB52_9
.LBB52_6:                               ; =>This Loop Header: Depth=1
                                        ;     Child Loop BB52_8 Depth 2
	s_and_saveexec_b64 s[4:5], vcc
	s_cbranch_execz .LBB52_5
; %bb.7:                                ;   in Loop: Header=BB52_6 Depth=1
	s_ashr_i32 s3, s2, 31
	s_lshl_b64 s[0:1], s[2:3], 2
	s_add_u32 s0, s26, s0
	s_addc_u32 s1, s27, s1
	s_load_dword s0, s[0:1], 0x0
	s_mul_hi_u32 s20, s30, s8
	s_load_dword s22, s[16:17], 0xc
	v_mov_b32_e32 v2, v0
	s_waitcnt lgkmcnt(0)
	s_ashr_i32 s1, s0, 31
	s_mul_i32 s3, s0, s7
	s_mul_hi_u32 s14, s0, s6
	s_add_i32 s3, s14, s3
	s_mul_i32 s1, s1, s6
	s_mul_i32 s0, s0, s6
	s_add_i32 s1, s3, s1
	s_lshl_b64 s[0:1], s[0:1], 1
	s_add_u32 s3, s12, s0
	s_addc_u32 s21, s13, s1
	s_ashr_i32 s0, s24, 31
	s_mul_i32 s1, s24, s11
	s_mul_hi_u32 s14, s24, s10
	s_add_i32 s1, s14, s1
	s_mul_i32 s0, s0, s10
	s_add_i32 s1, s1, s0
	s_mul_i32 s0, s24, s10
	s_lshl_b64 s[0:1], s[0:1], 1
	s_add_u32 s14, s28, s0
	s_addc_u32 s15, s29, s1
	s_ashr_i32 s0, s30, 31
	s_mul_i32 s1, s30, s9
	s_add_i32 s1, s20, s1
	s_mul_i32 s0, s0, s8
	s_add_i32 s1, s1, s0
	s_mul_i32 s0, s30, s8
	s_lshl_b64 s[0:1], s[0:1], 1
	s_add_u32 s20, s3, s0
	s_addc_u32 s21, s21, s1
	s_and_b32 s3, s22, 0xffff
	s_mov_b64 s[22:23], 0
.LBB52_8:                               ;   Parent Loop BB52_6 Depth=1
                                        ; =>  This Inner Loop Header: Depth=2
	v_ashrrev_i32_e32 v3, 31, v2
	v_lshlrev_b64 v[4:5], 1, v[2:3]
	v_lshl_add_u64 v[6:7], s[20:21], 0, v[4:5]
	global_load_ushort v1, v[6:7], off
	v_add_u32_e32 v2, s3, v2
	v_cmp_le_i32_e64 s[0:1], s19, v2
	v_lshl_add_u64 v[4:5], s[14:15], 0, v[4:5]
	s_or_b64 s[22:23], s[0:1], s[22:23]
	s_waitcnt vmcnt(0)
	global_store_short v[4:5], v1, off
	s_andn2_b64 exec, exec, s[22:23]
	s_cbranch_execnz .LBB52_8
	s_branch .LBB52_5
.LBB52_9:
	s_endpgm
	.section	.rodata,"a",@progbits
	.p2align	6, 0x0
	.amdhsa_kernel _ZN4vllm15cp_gather_cacheItEEvPKT_PS1_PKiS6_iillllS6_
		.amdhsa_group_segment_fixed_size 0
		.amdhsa_private_segment_fixed_size 0
		.amdhsa_kernarg_size 336
		.amdhsa_user_sgpr_count 2
		.amdhsa_user_sgpr_dispatch_ptr 0
		.amdhsa_user_sgpr_queue_ptr 0
		.amdhsa_user_sgpr_kernarg_segment_ptr 1
		.amdhsa_user_sgpr_dispatch_id 0
		.amdhsa_user_sgpr_kernarg_preload_length 0
		.amdhsa_user_sgpr_kernarg_preload_offset 0
		.amdhsa_user_sgpr_private_segment_size 0
		.amdhsa_uses_dynamic_stack 0
		.amdhsa_enable_private_segment 0
		.amdhsa_system_sgpr_workgroup_id_x 1
		.amdhsa_system_sgpr_workgroup_id_y 1
		.amdhsa_system_sgpr_workgroup_id_z 0
		.amdhsa_system_sgpr_workgroup_info 0
		.amdhsa_system_vgpr_workitem_id 0
		.amdhsa_next_free_vgpr 8
		.amdhsa_next_free_sgpr 31
		.amdhsa_accum_offset 8
		.amdhsa_reserve_vcc 1
		.amdhsa_float_round_mode_32 0
		.amdhsa_float_round_mode_16_64 0
		.amdhsa_float_denorm_mode_32 3
		.amdhsa_float_denorm_mode_16_64 3
		.amdhsa_dx10_clamp 1
		.amdhsa_ieee_mode 1
		.amdhsa_fp16_overflow 0
		.amdhsa_tg_split 0
		.amdhsa_exception_fp_ieee_invalid_op 0
		.amdhsa_exception_fp_denorm_src 0
		.amdhsa_exception_fp_ieee_div_zero 0
		.amdhsa_exception_fp_ieee_overflow 0
		.amdhsa_exception_fp_ieee_underflow 0
		.amdhsa_exception_fp_ieee_inexact 0
		.amdhsa_exception_int_div_zero 0
	.end_amdhsa_kernel
	.section	.text._ZN4vllm15cp_gather_cacheItEEvPKT_PS1_PKiS6_iillllS6_,"axG",@progbits,_ZN4vllm15cp_gather_cacheItEEvPKT_PS1_PKiS6_iillllS6_,comdat
.Lfunc_end52:
	.size	_ZN4vllm15cp_gather_cacheItEEvPKT_PS1_PKiS6_iillllS6_, .Lfunc_end52-_ZN4vllm15cp_gather_cacheItEEvPKT_PS1_PKiS6_iillllS6_
                                        ; -- End function
	.section	.AMDGPU.csdata,"",@progbits
; Kernel info:
; codeLenInByte = 788
; NumSgprs: 37
; NumVgprs: 8
; NumAgprs: 0
; TotalNumVgprs: 8
; ScratchSize: 0
; MemoryBound: 0
; FloatMode: 240
; IeeeMode: 1
; LDSByteSize: 0 bytes/workgroup (compile time only)
; SGPRBlocks: 4
; VGPRBlocks: 0
; NumSGPRsForWavesPerEU: 37
; NumVGPRsForWavesPerEU: 8
; AccumOffset: 8
; Occupancy: 8
; WaveLimiterHint : 1
; COMPUTE_PGM_RSRC2:SCRATCH_EN: 0
; COMPUTE_PGM_RSRC2:USER_SGPR: 2
; COMPUTE_PGM_RSRC2:TRAP_HANDLER: 0
; COMPUTE_PGM_RSRC2:TGID_X_EN: 1
; COMPUTE_PGM_RSRC2:TGID_Y_EN: 1
; COMPUTE_PGM_RSRC2:TGID_Z_EN: 0
; COMPUTE_PGM_RSRC2:TIDIG_COMP_CNT: 0
; COMPUTE_PGM_RSRC3_GFX90A:ACCUM_OFFSET: 1
; COMPUTE_PGM_RSRC3_GFX90A:TG_SPLIT: 0
	.section	.text._ZN4vllm15cp_gather_cacheIhEEvPKT_PS1_PKiS6_iillllS6_,"axG",@progbits,_ZN4vllm15cp_gather_cacheIhEEvPKT_PS1_PKiS6_iillllS6_,comdat
	.protected	_ZN4vllm15cp_gather_cacheIhEEvPKT_PS1_PKiS6_iillllS6_ ; -- Begin function _ZN4vllm15cp_gather_cacheIhEEvPKT_PS1_PKiS6_iillllS6_
	.globl	_ZN4vllm15cp_gather_cacheIhEEvPKT_PS1_PKiS6_iillllS6_
	.p2align	8
	.type	_ZN4vllm15cp_gather_cacheIhEEvPKT_PS1_PKiS6_iillllS6_,@function
_ZN4vllm15cp_gather_cacheIhEEvPKT_PS1_PKiS6_iillllS6_: ; @_ZN4vllm15cp_gather_cacheIhEEvPKT_PS1_PKiS6_iillllS6_
; %bb.0:
	s_load_dwordx2 s[8:9], s[0:1], 0x18
	s_load_dword s5, s[0:1], 0x54
	s_mov_b32 s4, s3
	s_mov_b32 s3, 0
	s_add_u32 s16, s0, 0x50
	s_addc_u32 s17, s1, 0
	s_lshl_b64 s[6:7], s[2:3], 2
	s_waitcnt lgkmcnt(0)
	s_add_u32 s8, s8, s6
	s_addc_u32 s9, s9, s7
	s_abs_i32 s3, s5
	v_cvt_f32_u32_e32 v1, s3
	s_load_dwordx2 s[20:21], s[8:9], 0x0
	s_sub_i32 s10, 0, s3
	v_rcp_iflag_f32_e32 v1, v1
	s_waitcnt lgkmcnt(0)
	s_sub_i32 s8, s21, s20
	s_add_i32 s9, s5, s8
	v_mul_f32_e32 v1, 0x4f7ffffe, v1
	v_cvt_u32_f32_e32 v1, v1
	s_add_i32 s9, s9, -1
	s_xor_b32 s5, s9, s5
	s_abs_i32 s9, s9
	v_readfirstlane_b32 s11, v1
	s_mul_i32 s10, s10, s11
	s_mul_hi_u32 s10, s11, s10
	s_add_i32 s11, s11, s10
	s_mul_hi_u32 s10, s9, s11
	s_mul_i32 s11, s10, s3
	s_sub_i32 s9, s9, s11
	s_ashr_i32 s5, s5, 31
	s_add_i32 s11, s10, 1
	s_sub_i32 s12, s9, s3
	s_cmp_ge_u32 s9, s3
	s_cselect_b32 s10, s11, s10
	s_cselect_b32 s9, s12, s9
	s_add_i32 s11, s10, 1
	s_cmp_ge_u32 s9, s3
	s_cselect_b32 s3, s11, s10
	s_xor_b32 s3, s3, s5
	s_sub_i32 s9, s3, s5
	s_mul_i32 s24, s9, s4
	s_cmp_ge_i32 s24, s8
	s_cbranch_scc1 .LBB53_9
; %bb.1:
	s_load_dwordx2 s[4:5], s[0:1], 0x48
	s_mov_b32 s3, s24
	s_waitcnt lgkmcnt(0)
	s_cmp_eq_u64 s[4:5], 0
	s_cbranch_scc1 .LBB53_3
; %bb.2:
	s_add_u32 s4, s4, s6
	s_addc_u32 s5, s5, s7
	s_load_dword s3, s[4:5], 0x0
	s_waitcnt lgkmcnt(0)
	s_add_i32 s3, s3, s24
.LBB53_3:
	s_add_i32 s4, s24, s9
	s_min_i32 s25, s4, s8
	s_cmp_ge_i32 s24, s25
	s_cbranch_scc1 .LBB53_9
; %bb.4:
	s_load_dwordx8 s[4:11], s[0:1], 0x28
	s_load_dwordx4 s[12:15], s[0:1], 0x0
	s_load_dwordx2 s[22:23], s[0:1], 0x10
	s_load_dwordx2 s[18:19], s[0:1], 0x20
	s_waitcnt lgkmcnt(0)
	s_mul_i32 s0, s2, s4
	s_ashr_i32 s1, s0, 31
	s_lshl_b64 s[0:1], s[0:1], 2
	s_add_u32 s26, s22, s0
	s_addc_u32 s27, s23, s1
	s_ashr_i32 s0, s20, 31
	s_mul_i32 s1, s20, s11
	s_mul_hi_u32 s2, s20, s10
	s_add_i32 s1, s2, s1
	s_mul_i32 s0, s0, s10
	s_add_i32 s1, s1, s0
	s_mul_i32 s0, s20, s10
	s_add_u32 s28, s14, s0
	s_addc_u32 s29, s15, s1
	s_abs_i32 s0, s18
	v_cvt_f32_u32_e32 v1, s0
	s_sub_i32 s4, 0, s0
	s_abs_i32 s2, s3
	s_xor_b32 s1, s3, s18
	v_rcp_iflag_f32_e32 v1, v1
	s_ashr_i32 s1, s1, 31
	v_cmp_gt_i32_e32 vcc, s19, v0
	v_mul_f32_e32 v1, 0x4f7ffffe, v1
	v_cvt_u32_f32_e32 v1, v1
	s_nop 0
	v_readfirstlane_b32 s5, v1
	s_mul_i32 s4, s4, s5
	s_mul_hi_u32 s4, s5, s4
	s_add_i32 s5, s5, s4
	s_mul_hi_u32 s4, s2, s5
	s_mul_i32 s5, s4, s0
	s_sub_i32 s2, s2, s5
	s_add_i32 s5, s4, 1
	s_sub_i32 s14, s2, s0
	s_cmp_ge_u32 s2, s0
	s_cselect_b32 s4, s5, s4
	s_cselect_b32 s2, s14, s2
	s_add_i32 s5, s4, 1
	s_cmp_ge_u32 s2, s0
	s_cselect_b32 s0, s5, s4
	s_xor_b32 s0, s0, s1
	s_sub_i32 s2, s0, s1
	s_mul_i32 s0, s2, s18
	s_sub_i32 s30, s3, s0
	s_branch .LBB53_6
.LBB53_5:                               ;   in Loop: Header=BB53_6 Depth=1
	s_or_b64 exec, exec, s[4:5]
	s_add_i32 s3, s30, 1
	s_cmp_eq_u32 s3, s18
	s_cselect_b64 s[0:1], -1, 0
	s_and_b64 s[4:5], s[0:1], exec
	s_cselect_b32 s30, 0, s3
	s_cmp_lg_u64 s[0:1], 0
	s_addc_u32 s2, s2, 0
	s_add_i32 s24, s24, 1
	s_cmp_lt_i32 s24, s25
	s_cbranch_scc0 .LBB53_9
.LBB53_6:                               ; =>This Loop Header: Depth=1
                                        ;     Child Loop BB53_8 Depth 2
	s_and_saveexec_b64 s[4:5], vcc
	s_cbranch_execz .LBB53_5
; %bb.7:                                ;   in Loop: Header=BB53_6 Depth=1
	s_ashr_i32 s3, s2, 31
	s_lshl_b64 s[0:1], s[2:3], 2
	s_add_u32 s0, s26, s0
	s_addc_u32 s1, s27, s1
	s_load_dword s0, s[0:1], 0x0
	s_mul_hi_u32 s15, s24, s10
	s_load_dword s22, s[16:17], 0xc
	s_mul_i32 s20, s30, s9
	s_mul_hi_u32 s21, s30, s8
	s_waitcnt lgkmcnt(0)
	s_ashr_i32 s1, s0, 31
	s_mul_i32 s3, s0, s7
	s_mul_hi_u32 s14, s0, s6
	s_add_i32 s3, s14, s3
	s_mul_i32 s1, s1, s6
	s_mul_i32 s0, s0, s6
	s_add_i32 s3, s3, s1
	s_add_u32 s0, s12, s0
	s_addc_u32 s1, s13, s3
	s_ashr_i32 s3, s24, 31
	s_mul_i32 s14, s24, s11
	s_add_i32 s14, s15, s14
	s_mul_i32 s3, s3, s10
	s_add_i32 s3, s14, s3
	s_mul_i32 s14, s24, s10
	s_add_u32 s14, s28, s14
	s_addc_u32 s15, s29, s3
	s_ashr_i32 s3, s30, 31
	s_add_i32 s20, s21, s20
	s_mul_i32 s3, s3, s8
	s_add_i32 s3, s20, s3
	s_mul_i32 s20, s30, s8
	s_add_u32 s20, s0, s20
	s_addc_u32 s21, s1, s3
	s_and_b32 s3, s22, 0xffff
	s_mov_b64 s[22:23], 0
	v_mov_b32_e32 v2, v0
.LBB53_8:                               ;   Parent Loop BB53_6 Depth=1
                                        ; =>  This Inner Loop Header: Depth=2
	v_ashrrev_i32_e32 v3, 31, v2
	v_lshl_add_u64 v[4:5], s[20:21], 0, v[2:3]
	global_load_ubyte v1, v[4:5], off
	v_lshl_add_u64 v[4:5], s[14:15], 0, v[2:3]
	v_add_u32_e32 v2, s3, v2
	v_cmp_le_i32_e64 s[0:1], s19, v2
	s_or_b64 s[22:23], s[0:1], s[22:23]
	s_waitcnt vmcnt(0)
	global_store_byte v[4:5], v1, off
	s_andn2_b64 exec, exec, s[22:23]
	s_cbranch_execnz .LBB53_8
	s_branch .LBB53_5
.LBB53_9:
	s_endpgm
	.section	.rodata,"a",@progbits
	.p2align	6, 0x0
	.amdhsa_kernel _ZN4vllm15cp_gather_cacheIhEEvPKT_PS1_PKiS6_iillllS6_
		.amdhsa_group_segment_fixed_size 0
		.amdhsa_private_segment_fixed_size 0
		.amdhsa_kernarg_size 336
		.amdhsa_user_sgpr_count 2
		.amdhsa_user_sgpr_dispatch_ptr 0
		.amdhsa_user_sgpr_queue_ptr 0
		.amdhsa_user_sgpr_kernarg_segment_ptr 1
		.amdhsa_user_sgpr_dispatch_id 0
		.amdhsa_user_sgpr_kernarg_preload_length 0
		.amdhsa_user_sgpr_kernarg_preload_offset 0
		.amdhsa_user_sgpr_private_segment_size 0
		.amdhsa_uses_dynamic_stack 0
		.amdhsa_enable_private_segment 0
		.amdhsa_system_sgpr_workgroup_id_x 1
		.amdhsa_system_sgpr_workgroup_id_y 1
		.amdhsa_system_sgpr_workgroup_id_z 0
		.amdhsa_system_sgpr_workgroup_info 0
		.amdhsa_system_vgpr_workitem_id 0
		.amdhsa_next_free_vgpr 6
		.amdhsa_next_free_sgpr 31
		.amdhsa_accum_offset 8
		.amdhsa_reserve_vcc 1
		.amdhsa_float_round_mode_32 0
		.amdhsa_float_round_mode_16_64 0
		.amdhsa_float_denorm_mode_32 3
		.amdhsa_float_denorm_mode_16_64 3
		.amdhsa_dx10_clamp 1
		.amdhsa_ieee_mode 1
		.amdhsa_fp16_overflow 0
		.amdhsa_tg_split 0
		.amdhsa_exception_fp_ieee_invalid_op 0
		.amdhsa_exception_fp_denorm_src 0
		.amdhsa_exception_fp_ieee_div_zero 0
		.amdhsa_exception_fp_ieee_overflow 0
		.amdhsa_exception_fp_ieee_underflow 0
		.amdhsa_exception_fp_ieee_inexact 0
		.amdhsa_exception_int_div_zero 0
	.end_amdhsa_kernel
	.section	.text._ZN4vllm15cp_gather_cacheIhEEvPKT_PS1_PKiS6_iillllS6_,"axG",@progbits,_ZN4vllm15cp_gather_cacheIhEEvPKT_PS1_PKiS6_iillllS6_,comdat
.Lfunc_end53:
	.size	_ZN4vllm15cp_gather_cacheIhEEvPKT_PS1_PKiS6_iillllS6_, .Lfunc_end53-_ZN4vllm15cp_gather_cacheIhEEvPKT_PS1_PKiS6_iillllS6_
                                        ; -- End function
	.section	.AMDGPU.csdata,"",@progbits
; Kernel info:
; codeLenInByte = 764
; NumSgprs: 37
; NumVgprs: 6
; NumAgprs: 0
; TotalNumVgprs: 6
; ScratchSize: 0
; MemoryBound: 0
; FloatMode: 240
; IeeeMode: 1
; LDSByteSize: 0 bytes/workgroup (compile time only)
; SGPRBlocks: 4
; VGPRBlocks: 0
; NumSGPRsForWavesPerEU: 37
; NumVGPRsForWavesPerEU: 6
; AccumOffset: 8
; Occupancy: 8
; WaveLimiterHint : 1
; COMPUTE_PGM_RSRC2:SCRATCH_EN: 0
; COMPUTE_PGM_RSRC2:USER_SGPR: 2
; COMPUTE_PGM_RSRC2:TRAP_HANDLER: 0
; COMPUTE_PGM_RSRC2:TGID_X_EN: 1
; COMPUTE_PGM_RSRC2:TGID_Y_EN: 1
; COMPUTE_PGM_RSRC2:TGID_Z_EN: 0
; COMPUTE_PGM_RSRC2:TIDIG_COMP_CNT: 0
; COMPUTE_PGM_RSRC3_GFX90A:ACCUM_OFFSET: 1
; COMPUTE_PGM_RSRC3_GFX90A:TG_SPLIT: 0
	.section	.text._ZN4vllm32indexer_k_quant_and_cache_kernelIffLNS_18Fp8KVCacheDataTypeE0EEEvPKT_PT0_PKliiiib,"axG",@progbits,_ZN4vllm32indexer_k_quant_and_cache_kernelIffLNS_18Fp8KVCacheDataTypeE0EEEvPKT_PT0_PKliiiib,comdat
	.protected	_ZN4vllm32indexer_k_quant_and_cache_kernelIffLNS_18Fp8KVCacheDataTypeE0EEEvPKT_PT0_PKliiiib ; -- Begin function _ZN4vllm32indexer_k_quant_and_cache_kernelIffLNS_18Fp8KVCacheDataTypeE0EEEvPKT_PT0_PKliiiib
	.globl	_ZN4vllm32indexer_k_quant_and_cache_kernelIffLNS_18Fp8KVCacheDataTypeE0EEEvPKT_PT0_PKliiiib
	.p2align	8
	.type	_ZN4vllm32indexer_k_quant_and_cache_kernelIffLNS_18Fp8KVCacheDataTypeE0EEEvPKT_PT0_PKliiiib,@function
_ZN4vllm32indexer_k_quant_and_cache_kernelIffLNS_18Fp8KVCacheDataTypeE0EEEvPKT_PT0_PKliiiib: ; @_ZN4vllm32indexer_k_quant_and_cache_kernelIffLNS_18Fp8KVCacheDataTypeE0EEEvPKT_PT0_PKliiiib
; %bb.0:
	s_load_dwordx2 s[6:7], s[0:1], 0x10
	s_mov_b32 s4, s2
	s_mov_b32 s5, 0
	s_lshl_b64 s[4:5], s[4:5], 3
	s_mov_b32 s32, 0
	s_waitcnt lgkmcnt(0)
	s_add_u32 s4, s6, s4
	s_addc_u32 s5, s7, s5
	s_load_dwordx2 s[4:5], s[4:5], 0x0
	s_waitcnt lgkmcnt(0)
	v_cmp_lt_i64_e64 s[4:5], s[4:5], 0
	s_and_b64 vcc, exec, s[4:5]
	s_cbranch_vccnz .LBB54_3
; %bb.1:
	s_load_dword s4, s[0:1], 0x18
	s_load_dword s2, s[0:1], 0x3c
	v_bfe_u32 v1, v0, 10, 10
	v_and_b32_e32 v0, 0x3ff, v0
	s_waitcnt lgkmcnt(0)
	s_ashr_i32 s5, s4, 31
	s_lshr_b32 s6, s2, 16
	s_mul_i32 s3, s3, s6
	s_and_b32 s2, s2, 0xffff
	v_add_u32_e32 v1, s3, v1
	v_mul_lo_u32 v1, v1, s2
	v_add_lshl_u32 v0, v1, v0, 2
	v_mov_b32_e32 v1, 0
	v_cmp_gt_i64_e32 vcc, s[4:5], v[0:1]
	s_and_saveexec_b64 s[2:3], vcc
	s_cbranch_execz .LBB54_3
; %bb.2:
	s_add_u32 s8, s0, 48
	s_addc_u32 s9, s1, 0
	s_getpc_b64 s[0:1]
	s_add_u32 s0, s0, .str@rel32@lo+4
	s_addc_u32 s1, s1, .str@rel32@hi+12
	s_getpc_b64 s[2:3]
	s_add_u32 s2, s2, .str.1@rel32@lo+4
	s_addc_u32 s3, s3, .str.1@rel32@hi+12
	s_getpc_b64 s[4:5]
	s_add_u32 s4, s4, __PRETTY_FUNCTION__._ZN4vllm3fp814scaled_convertIffLNS_18Fp8KVCacheDataTypeE0EEET_RKT0_f@rel32@lo+4
	s_addc_u32 s5, s5, __PRETTY_FUNCTION__._ZN4vllm3fp814scaled_convertIffLNS_18Fp8KVCacheDataTypeE0EEET_RKT0_f@rel32@hi+12
	v_mov_b32_e32 v0, s0
	v_mov_b32_e32 v1, s1
	;; [unrolled: 1-line block ×7, first 2 shown]
	s_getpc_b64 s[6:7]
	s_add_u32 s6, s6, __assert_fail@rel32@lo+4
	s_addc_u32 s7, s7, __assert_fail@rel32@hi+12
	s_swappc_b64 s[30:31], s[6:7]
	; divergent unreachable
.LBB54_3:
	s_endpgm
	.section	.rodata,"a",@progbits
	.p2align	6, 0x0
	.amdhsa_kernel _ZN4vllm32indexer_k_quant_and_cache_kernelIffLNS_18Fp8KVCacheDataTypeE0EEEvPKT_PT0_PKliiiib
		.amdhsa_group_segment_fixed_size 0
		.amdhsa_private_segment_fixed_size 64
		.amdhsa_kernarg_size 304
		.amdhsa_user_sgpr_count 2
		.amdhsa_user_sgpr_dispatch_ptr 0
		.amdhsa_user_sgpr_queue_ptr 0
		.amdhsa_user_sgpr_kernarg_segment_ptr 1
		.amdhsa_user_sgpr_dispatch_id 0
		.amdhsa_user_sgpr_kernarg_preload_length 0
		.amdhsa_user_sgpr_kernarg_preload_offset 0
		.amdhsa_user_sgpr_private_segment_size 0
		.amdhsa_uses_dynamic_stack 0
		.amdhsa_enable_private_segment 1
		.amdhsa_system_sgpr_workgroup_id_x 1
		.amdhsa_system_sgpr_workgroup_id_y 1
		.amdhsa_system_sgpr_workgroup_id_z 0
		.amdhsa_system_sgpr_workgroup_info 0
		.amdhsa_system_vgpr_workitem_id 1
		.amdhsa_next_free_vgpr 53
		.amdhsa_next_free_sgpr 34
		.amdhsa_accum_offset 56
		.amdhsa_reserve_vcc 1
		.amdhsa_float_round_mode_32 0
		.amdhsa_float_round_mode_16_64 0
		.amdhsa_float_denorm_mode_32 3
		.amdhsa_float_denorm_mode_16_64 3
		.amdhsa_dx10_clamp 1
		.amdhsa_ieee_mode 1
		.amdhsa_fp16_overflow 0
		.amdhsa_tg_split 0
		.amdhsa_exception_fp_ieee_invalid_op 0
		.amdhsa_exception_fp_denorm_src 0
		.amdhsa_exception_fp_ieee_div_zero 0
		.amdhsa_exception_fp_ieee_overflow 0
		.amdhsa_exception_fp_ieee_underflow 0
		.amdhsa_exception_fp_ieee_inexact 0
		.amdhsa_exception_int_div_zero 0
	.end_amdhsa_kernel
	.section	.text._ZN4vllm32indexer_k_quant_and_cache_kernelIffLNS_18Fp8KVCacheDataTypeE0EEEvPKT_PT0_PKliiiib,"axG",@progbits,_ZN4vllm32indexer_k_quant_and_cache_kernelIffLNS_18Fp8KVCacheDataTypeE0EEEvPKT_PT0_PKliiiib,comdat
.Lfunc_end54:
	.size	_ZN4vllm32indexer_k_quant_and_cache_kernelIffLNS_18Fp8KVCacheDataTypeE0EEEvPKT_PT0_PKliiiib, .Lfunc_end54-_ZN4vllm32indexer_k_quant_and_cache_kernelIffLNS_18Fp8KVCacheDataTypeE0EEEvPKT_PT0_PKliiiib
                                        ; -- End function
	.section	.AMDGPU.csdata,"",@progbits
; Kernel info:
; codeLenInByte = 284
; NumSgprs: 40
; NumVgprs: 53
; NumAgprs: 0
; TotalNumVgprs: 53
; ScratchSize: 64
; MemoryBound: 0
; FloatMode: 240
; IeeeMode: 1
; LDSByteSize: 0 bytes/workgroup (compile time only)
; SGPRBlocks: 4
; VGPRBlocks: 6
; NumSGPRsForWavesPerEU: 40
; NumVGPRsForWavesPerEU: 53
; AccumOffset: 56
; Occupancy: 8
; WaveLimiterHint : 1
; COMPUTE_PGM_RSRC2:SCRATCH_EN: 1
; COMPUTE_PGM_RSRC2:USER_SGPR: 2
; COMPUTE_PGM_RSRC2:TRAP_HANDLER: 0
; COMPUTE_PGM_RSRC2:TGID_X_EN: 1
; COMPUTE_PGM_RSRC2:TGID_Y_EN: 1
; COMPUTE_PGM_RSRC2:TGID_Z_EN: 0
; COMPUTE_PGM_RSRC2:TIDIG_COMP_CNT: 1
; COMPUTE_PGM_RSRC3_GFX90A:ACCUM_OFFSET: 13
; COMPUTE_PGM_RSRC3_GFX90A:TG_SPLIT: 0
	.section	.text._ZN4vllm32indexer_k_quant_and_cache_kernelIttLNS_18Fp8KVCacheDataTypeE0EEEvPKT_PT0_PKliiiib,"axG",@progbits,_ZN4vllm32indexer_k_quant_and_cache_kernelIttLNS_18Fp8KVCacheDataTypeE0EEEvPKT_PT0_PKliiiib,comdat
	.protected	_ZN4vllm32indexer_k_quant_and_cache_kernelIttLNS_18Fp8KVCacheDataTypeE0EEEvPKT_PT0_PKliiiib ; -- Begin function _ZN4vllm32indexer_k_quant_and_cache_kernelIttLNS_18Fp8KVCacheDataTypeE0EEEvPKT_PT0_PKliiiib
	.globl	_ZN4vllm32indexer_k_quant_and_cache_kernelIttLNS_18Fp8KVCacheDataTypeE0EEEvPKT_PT0_PKliiiib
	.p2align	8
	.type	_ZN4vllm32indexer_k_quant_and_cache_kernelIttLNS_18Fp8KVCacheDataTypeE0EEEvPKT_PT0_PKliiiib,@function
_ZN4vllm32indexer_k_quant_and_cache_kernelIttLNS_18Fp8KVCacheDataTypeE0EEEvPKT_PT0_PKliiiib: ; @_ZN4vllm32indexer_k_quant_and_cache_kernelIttLNS_18Fp8KVCacheDataTypeE0EEEvPKT_PT0_PKliiiib
; %bb.0:
	s_load_dwordx2 s[6:7], s[0:1], 0x10
	s_mov_b32 s4, s2
	s_mov_b32 s5, 0
	s_lshl_b64 s[4:5], s[4:5], 3
	s_mov_b32 s32, 0
	s_waitcnt lgkmcnt(0)
	s_add_u32 s4, s6, s4
	s_addc_u32 s5, s7, s5
	s_load_dwordx2 s[4:5], s[4:5], 0x0
	s_waitcnt lgkmcnt(0)
	v_cmp_lt_i64_e64 s[4:5], s[4:5], 0
	s_and_b64 vcc, exec, s[4:5]
	s_cbranch_vccnz .LBB55_3
; %bb.1:
	s_load_dword s4, s[0:1], 0x18
	s_load_dword s2, s[0:1], 0x3c
	v_bfe_u32 v1, v0, 10, 10
	v_and_b32_e32 v0, 0x3ff, v0
	s_waitcnt lgkmcnt(0)
	s_ashr_i32 s5, s4, 31
	s_lshr_b32 s6, s2, 16
	s_mul_i32 s3, s3, s6
	s_and_b32 s2, s2, 0xffff
	v_add_u32_e32 v1, s3, v1
	v_mul_lo_u32 v1, v1, s2
	v_add_lshl_u32 v0, v1, v0, 2
	v_mov_b32_e32 v1, 0
	v_cmp_gt_i64_e32 vcc, s[4:5], v[0:1]
	s_and_saveexec_b64 s[2:3], vcc
	s_cbranch_execz .LBB55_3
; %bb.2:
	s_add_u32 s8, s0, 48
	s_addc_u32 s9, s1, 0
	s_getpc_b64 s[0:1]
	s_add_u32 s0, s0, .str@rel32@lo+4
	s_addc_u32 s1, s1, .str@rel32@hi+12
	s_getpc_b64 s[2:3]
	s_add_u32 s2, s2, .str.1@rel32@lo+4
	s_addc_u32 s3, s3, .str.1@rel32@hi+12
	s_getpc_b64 s[4:5]
	s_add_u32 s4, s4, __PRETTY_FUNCTION__._ZN4vllm3fp814scaled_convertIttLNS_18Fp8KVCacheDataTypeE0EEET_RKT0_f@rel32@lo+4
	s_addc_u32 s5, s5, __PRETTY_FUNCTION__._ZN4vllm3fp814scaled_convertIttLNS_18Fp8KVCacheDataTypeE0EEET_RKT0_f@rel32@hi+12
	v_mov_b32_e32 v0, s0
	v_mov_b32_e32 v1, s1
	;; [unrolled: 1-line block ×7, first 2 shown]
	s_getpc_b64 s[6:7]
	s_add_u32 s6, s6, __assert_fail@rel32@lo+4
	s_addc_u32 s7, s7, __assert_fail@rel32@hi+12
	s_swappc_b64 s[30:31], s[6:7]
	; divergent unreachable
.LBB55_3:
	s_endpgm
	.section	.rodata,"a",@progbits
	.p2align	6, 0x0
	.amdhsa_kernel _ZN4vllm32indexer_k_quant_and_cache_kernelIttLNS_18Fp8KVCacheDataTypeE0EEEvPKT_PT0_PKliiiib
		.amdhsa_group_segment_fixed_size 0
		.amdhsa_private_segment_fixed_size 64
		.amdhsa_kernarg_size 304
		.amdhsa_user_sgpr_count 2
		.amdhsa_user_sgpr_dispatch_ptr 0
		.amdhsa_user_sgpr_queue_ptr 0
		.amdhsa_user_sgpr_kernarg_segment_ptr 1
		.amdhsa_user_sgpr_dispatch_id 0
		.amdhsa_user_sgpr_kernarg_preload_length 0
		.amdhsa_user_sgpr_kernarg_preload_offset 0
		.amdhsa_user_sgpr_private_segment_size 0
		.amdhsa_uses_dynamic_stack 0
		.amdhsa_enable_private_segment 1
		.amdhsa_system_sgpr_workgroup_id_x 1
		.amdhsa_system_sgpr_workgroup_id_y 1
		.amdhsa_system_sgpr_workgroup_id_z 0
		.amdhsa_system_sgpr_workgroup_info 0
		.amdhsa_system_vgpr_workitem_id 1
		.amdhsa_next_free_vgpr 53
		.amdhsa_next_free_sgpr 34
		.amdhsa_accum_offset 56
		.amdhsa_reserve_vcc 1
		.amdhsa_float_round_mode_32 0
		.amdhsa_float_round_mode_16_64 0
		.amdhsa_float_denorm_mode_32 3
		.amdhsa_float_denorm_mode_16_64 3
		.amdhsa_dx10_clamp 1
		.amdhsa_ieee_mode 1
		.amdhsa_fp16_overflow 0
		.amdhsa_tg_split 0
		.amdhsa_exception_fp_ieee_invalid_op 0
		.amdhsa_exception_fp_denorm_src 0
		.amdhsa_exception_fp_ieee_div_zero 0
		.amdhsa_exception_fp_ieee_overflow 0
		.amdhsa_exception_fp_ieee_underflow 0
		.amdhsa_exception_fp_ieee_inexact 0
		.amdhsa_exception_int_div_zero 0
	.end_amdhsa_kernel
	.section	.text._ZN4vllm32indexer_k_quant_and_cache_kernelIttLNS_18Fp8KVCacheDataTypeE0EEEvPKT_PT0_PKliiiib,"axG",@progbits,_ZN4vllm32indexer_k_quant_and_cache_kernelIttLNS_18Fp8KVCacheDataTypeE0EEEvPKT_PT0_PKliiiib,comdat
.Lfunc_end55:
	.size	_ZN4vllm32indexer_k_quant_and_cache_kernelIttLNS_18Fp8KVCacheDataTypeE0EEEvPKT_PT0_PKliiiib, .Lfunc_end55-_ZN4vllm32indexer_k_quant_and_cache_kernelIttLNS_18Fp8KVCacheDataTypeE0EEEvPKT_PT0_PKliiiib
                                        ; -- End function
	.section	.AMDGPU.csdata,"",@progbits
; Kernel info:
; codeLenInByte = 284
; NumSgprs: 40
; NumVgprs: 53
; NumAgprs: 0
; TotalNumVgprs: 53
; ScratchSize: 64
; MemoryBound: 0
; FloatMode: 240
; IeeeMode: 1
; LDSByteSize: 0 bytes/workgroup (compile time only)
; SGPRBlocks: 4
; VGPRBlocks: 6
; NumSGPRsForWavesPerEU: 40
; NumVGPRsForWavesPerEU: 53
; AccumOffset: 56
; Occupancy: 8
; WaveLimiterHint : 1
; COMPUTE_PGM_RSRC2:SCRATCH_EN: 1
; COMPUTE_PGM_RSRC2:USER_SGPR: 2
; COMPUTE_PGM_RSRC2:TRAP_HANDLER: 0
; COMPUTE_PGM_RSRC2:TGID_X_EN: 1
; COMPUTE_PGM_RSRC2:TGID_Y_EN: 1
; COMPUTE_PGM_RSRC2:TGID_Z_EN: 0
; COMPUTE_PGM_RSRC2:TIDIG_COMP_CNT: 1
; COMPUTE_PGM_RSRC3_GFX90A:ACCUM_OFFSET: 13
; COMPUTE_PGM_RSRC3_GFX90A:TG_SPLIT: 0
	.section	.text._ZN4vllm32indexer_k_quant_and_cache_kernelI14__hip_bfloat16S1_LNS_18Fp8KVCacheDataTypeE0EEEvPKT_PT0_PKliiiib,"axG",@progbits,_ZN4vllm32indexer_k_quant_and_cache_kernelI14__hip_bfloat16S1_LNS_18Fp8KVCacheDataTypeE0EEEvPKT_PT0_PKliiiib,comdat
	.protected	_ZN4vllm32indexer_k_quant_and_cache_kernelI14__hip_bfloat16S1_LNS_18Fp8KVCacheDataTypeE0EEEvPKT_PT0_PKliiiib ; -- Begin function _ZN4vllm32indexer_k_quant_and_cache_kernelI14__hip_bfloat16S1_LNS_18Fp8KVCacheDataTypeE0EEEvPKT_PT0_PKliiiib
	.globl	_ZN4vllm32indexer_k_quant_and_cache_kernelI14__hip_bfloat16S1_LNS_18Fp8KVCacheDataTypeE0EEEvPKT_PT0_PKliiiib
	.p2align	8
	.type	_ZN4vllm32indexer_k_quant_and_cache_kernelI14__hip_bfloat16S1_LNS_18Fp8KVCacheDataTypeE0EEEvPKT_PT0_PKliiiib,@function
_ZN4vllm32indexer_k_quant_and_cache_kernelI14__hip_bfloat16S1_LNS_18Fp8KVCacheDataTypeE0EEEvPKT_PT0_PKliiiib: ; @_ZN4vllm32indexer_k_quant_and_cache_kernelI14__hip_bfloat16S1_LNS_18Fp8KVCacheDataTypeE0EEEvPKT_PT0_PKliiiib
; %bb.0:
	s_load_dwordx2 s[6:7], s[0:1], 0x10
	s_mov_b32 s4, s2
	s_mov_b32 s5, 0
	s_lshl_b64 s[4:5], s[4:5], 3
	s_mov_b32 s32, 0
	s_waitcnt lgkmcnt(0)
	s_add_u32 s4, s6, s4
	s_addc_u32 s5, s7, s5
	s_load_dwordx2 s[4:5], s[4:5], 0x0
	s_waitcnt lgkmcnt(0)
	v_cmp_lt_i64_e64 s[4:5], s[4:5], 0
	s_and_b64 vcc, exec, s[4:5]
	s_cbranch_vccnz .LBB56_3
; %bb.1:
	s_load_dword s4, s[0:1], 0x18
	s_load_dword s2, s[0:1], 0x3c
	v_bfe_u32 v1, v0, 10, 10
	v_and_b32_e32 v0, 0x3ff, v0
	s_waitcnt lgkmcnt(0)
	s_ashr_i32 s5, s4, 31
	s_lshr_b32 s6, s2, 16
	s_mul_i32 s3, s3, s6
	s_and_b32 s2, s2, 0xffff
	v_add_u32_e32 v1, s3, v1
	v_mul_lo_u32 v1, v1, s2
	v_add_lshl_u32 v0, v1, v0, 2
	v_mov_b32_e32 v1, 0
	v_cmp_gt_i64_e32 vcc, s[4:5], v[0:1]
	s_and_saveexec_b64 s[2:3], vcc
	s_cbranch_execz .LBB56_3
; %bb.2:
	s_add_u32 s8, s0, 48
	s_addc_u32 s9, s1, 0
	s_getpc_b64 s[0:1]
	s_add_u32 s0, s0, .str@rel32@lo+4
	s_addc_u32 s1, s1, .str@rel32@hi+12
	s_getpc_b64 s[2:3]
	s_add_u32 s2, s2, .str.1@rel32@lo+4
	s_addc_u32 s3, s3, .str.1@rel32@hi+12
	s_getpc_b64 s[4:5]
	s_add_u32 s4, s4, __PRETTY_FUNCTION__._ZN4vllm3fp814scaled_convertI14__hip_bfloat16S2_LNS_18Fp8KVCacheDataTypeE0EEET_RKT0_f@rel32@lo+4
	s_addc_u32 s5, s5, __PRETTY_FUNCTION__._ZN4vllm3fp814scaled_convertI14__hip_bfloat16S2_LNS_18Fp8KVCacheDataTypeE0EEET_RKT0_f@rel32@hi+12
	v_mov_b32_e32 v0, s0
	v_mov_b32_e32 v1, s1
	;; [unrolled: 1-line block ×7, first 2 shown]
	s_getpc_b64 s[6:7]
	s_add_u32 s6, s6, __assert_fail@rel32@lo+4
	s_addc_u32 s7, s7, __assert_fail@rel32@hi+12
	s_swappc_b64 s[30:31], s[6:7]
	; divergent unreachable
.LBB56_3:
	s_endpgm
	.section	.rodata,"a",@progbits
	.p2align	6, 0x0
	.amdhsa_kernel _ZN4vllm32indexer_k_quant_and_cache_kernelI14__hip_bfloat16S1_LNS_18Fp8KVCacheDataTypeE0EEEvPKT_PT0_PKliiiib
		.amdhsa_group_segment_fixed_size 0
		.amdhsa_private_segment_fixed_size 64
		.amdhsa_kernarg_size 304
		.amdhsa_user_sgpr_count 2
		.amdhsa_user_sgpr_dispatch_ptr 0
		.amdhsa_user_sgpr_queue_ptr 0
		.amdhsa_user_sgpr_kernarg_segment_ptr 1
		.amdhsa_user_sgpr_dispatch_id 0
		.amdhsa_user_sgpr_kernarg_preload_length 0
		.amdhsa_user_sgpr_kernarg_preload_offset 0
		.amdhsa_user_sgpr_private_segment_size 0
		.amdhsa_uses_dynamic_stack 0
		.amdhsa_enable_private_segment 1
		.amdhsa_system_sgpr_workgroup_id_x 1
		.amdhsa_system_sgpr_workgroup_id_y 1
		.amdhsa_system_sgpr_workgroup_id_z 0
		.amdhsa_system_sgpr_workgroup_info 0
		.amdhsa_system_vgpr_workitem_id 1
		.amdhsa_next_free_vgpr 53
		.amdhsa_next_free_sgpr 34
		.amdhsa_accum_offset 56
		.amdhsa_reserve_vcc 1
		.amdhsa_float_round_mode_32 0
		.amdhsa_float_round_mode_16_64 0
		.amdhsa_float_denorm_mode_32 3
		.amdhsa_float_denorm_mode_16_64 3
		.amdhsa_dx10_clamp 1
		.amdhsa_ieee_mode 1
		.amdhsa_fp16_overflow 0
		.amdhsa_tg_split 0
		.amdhsa_exception_fp_ieee_invalid_op 0
		.amdhsa_exception_fp_denorm_src 0
		.amdhsa_exception_fp_ieee_div_zero 0
		.amdhsa_exception_fp_ieee_overflow 0
		.amdhsa_exception_fp_ieee_underflow 0
		.amdhsa_exception_fp_ieee_inexact 0
		.amdhsa_exception_int_div_zero 0
	.end_amdhsa_kernel
	.section	.text._ZN4vllm32indexer_k_quant_and_cache_kernelI14__hip_bfloat16S1_LNS_18Fp8KVCacheDataTypeE0EEEvPKT_PT0_PKliiiib,"axG",@progbits,_ZN4vllm32indexer_k_quant_and_cache_kernelI14__hip_bfloat16S1_LNS_18Fp8KVCacheDataTypeE0EEEvPKT_PT0_PKliiiib,comdat
.Lfunc_end56:
	.size	_ZN4vllm32indexer_k_quant_and_cache_kernelI14__hip_bfloat16S1_LNS_18Fp8KVCacheDataTypeE0EEEvPKT_PT0_PKliiiib, .Lfunc_end56-_ZN4vllm32indexer_k_quant_and_cache_kernelI14__hip_bfloat16S1_LNS_18Fp8KVCacheDataTypeE0EEEvPKT_PT0_PKliiiib
                                        ; -- End function
	.section	.AMDGPU.csdata,"",@progbits
; Kernel info:
; codeLenInByte = 284
; NumSgprs: 40
; NumVgprs: 53
; NumAgprs: 0
; TotalNumVgprs: 53
; ScratchSize: 64
; MemoryBound: 0
; FloatMode: 240
; IeeeMode: 1
; LDSByteSize: 0 bytes/workgroup (compile time only)
; SGPRBlocks: 4
; VGPRBlocks: 6
; NumSGPRsForWavesPerEU: 40
; NumVGPRsForWavesPerEU: 53
; AccumOffset: 56
; Occupancy: 8
; WaveLimiterHint : 1
; COMPUTE_PGM_RSRC2:SCRATCH_EN: 1
; COMPUTE_PGM_RSRC2:USER_SGPR: 2
; COMPUTE_PGM_RSRC2:TRAP_HANDLER: 0
; COMPUTE_PGM_RSRC2:TGID_X_EN: 1
; COMPUTE_PGM_RSRC2:TGID_Y_EN: 1
; COMPUTE_PGM_RSRC2:TGID_Z_EN: 0
; COMPUTE_PGM_RSRC2:TIDIG_COMP_CNT: 1
; COMPUTE_PGM_RSRC3_GFX90A:ACCUM_OFFSET: 13
; COMPUTE_PGM_RSRC3_GFX90A:TG_SPLIT: 0
	.section	.text._ZN4vllm32indexer_k_quant_and_cache_kernelIfhLNS_18Fp8KVCacheDataTypeE1EEEvPKT_PT0_PKliiiib,"axG",@progbits,_ZN4vllm32indexer_k_quant_and_cache_kernelIfhLNS_18Fp8KVCacheDataTypeE1EEEvPKT_PT0_PKliiiib,comdat
	.protected	_ZN4vllm32indexer_k_quant_and_cache_kernelIfhLNS_18Fp8KVCacheDataTypeE1EEEvPKT_PT0_PKliiiib ; -- Begin function _ZN4vllm32indexer_k_quant_and_cache_kernelIfhLNS_18Fp8KVCacheDataTypeE1EEEvPKT_PT0_PKliiiib
	.globl	_ZN4vllm32indexer_k_quant_and_cache_kernelIfhLNS_18Fp8KVCacheDataTypeE1EEEvPKT_PT0_PKliiiib
	.p2align	8
	.type	_ZN4vllm32indexer_k_quant_and_cache_kernelIfhLNS_18Fp8KVCacheDataTypeE1EEEvPKT_PT0_PKliiiib,@function
_ZN4vllm32indexer_k_quant_and_cache_kernelIfhLNS_18Fp8KVCacheDataTypeE1EEEvPKT_PT0_PKliiiib: ; @_ZN4vllm32indexer_k_quant_and_cache_kernelIfhLNS_18Fp8KVCacheDataTypeE1EEEvPKT_PT0_PKliiiib
; %bb.0:
	s_load_dwordx2 s[6:7], s[0:1], 0x10
	s_load_dwordx4 s[8:11], s[0:1], 0x18
	s_mov_b32 s4, s3
	s_mov_b32 s3, 0
	s_lshl_b64 s[12:13], s[2:3], 3
	s_waitcnt lgkmcnt(0)
	s_add_u32 s6, s6, s12
	s_addc_u32 s7, s7, s13
	s_load_dwordx2 s[14:15], s[6:7], 0x0
	s_ashr_i32 s13, s10, 31
	s_mov_b32 s12, s10
	s_waitcnt lgkmcnt(0)
	s_or_b64 s[6:7], s[14:15], s[12:13]
	s_mov_b32 s6, s3
	s_cmp_lg_u64 s[6:7], 0
	s_cbranch_scc0 .LBB57_12
; %bb.1:
	s_add_u32 s16, s12, s13
	s_mov_b32 s6, s13
	s_mov_b32 s7, s13
	s_addc_u32 s17, s13, s13
	s_xor_b64 s[16:17], s[16:17], s[6:7]
	v_cvt_f32_u32_e32 v1, s16
	v_cvt_f32_u32_e32 v2, s17
	s_sub_u32 s3, 0, s16
	s_subb_u32 s5, 0, s17
	v_fmamk_f32 v1, v2, 0x4f800000, v1
	v_rcp_f32_e32 v1, v1
	s_nop 0
	v_mul_f32_e32 v1, 0x5f7ffffc, v1
	v_mul_f32_e32 v2, 0x2f800000, v1
	v_trunc_f32_e32 v2, v2
	v_fmamk_f32 v1, v2, 0xcf800000, v1
	v_cvt_u32_f32_e32 v2, v2
	v_cvt_u32_f32_e32 v1, v1
	v_readfirstlane_b32 s6, v2
	v_readfirstlane_b32 s7, v1
	s_mul_i32 s10, s3, s6
	s_mul_hi_u32 s20, s3, s7
	s_mul_i32 s13, s5, s7
	s_add_i32 s10, s20, s10
	s_add_i32 s10, s10, s13
	s_mul_i32 s21, s3, s7
	s_mul_hi_u32 s13, s7, s10
	s_mul_i32 s20, s7, s10
	s_mul_hi_u32 s7, s7, s21
	s_add_u32 s7, s7, s20
	s_addc_u32 s13, 0, s13
	s_mul_hi_u32 s22, s6, s21
	s_mul_i32 s21, s6, s21
	s_add_u32 s7, s7, s21
	s_mul_hi_u32 s20, s6, s10
	s_addc_u32 s7, s13, s22
	s_addc_u32 s13, s20, 0
	s_mul_i32 s10, s6, s10
	s_add_u32 s7, s7, s10
	s_addc_u32 s10, 0, s13
	v_add_co_u32_e32 v1, vcc, s7, v1
	s_cmp_lg_u64 vcc, 0
	s_addc_u32 s6, s6, s10
	v_readfirstlane_b32 s10, v1
	s_mul_i32 s7, s3, s6
	s_mul_hi_u32 s13, s3, s10
	s_add_i32 s7, s13, s7
	s_mul_i32 s5, s5, s10
	s_add_i32 s7, s7, s5
	s_mul_i32 s3, s3, s10
	s_mul_hi_u32 s13, s6, s3
	s_mul_i32 s20, s6, s3
	s_mul_i32 s22, s10, s7
	s_mul_hi_u32 s3, s10, s3
	s_mul_hi_u32 s21, s10, s7
	s_add_u32 s3, s3, s22
	s_addc_u32 s10, 0, s21
	s_add_u32 s3, s3, s20
	s_mul_hi_u32 s5, s6, s7
	s_addc_u32 s3, s10, s13
	s_addc_u32 s5, s5, 0
	s_mul_i32 s7, s6, s7
	s_add_u32 s3, s3, s7
	s_addc_u32 s5, 0, s5
	v_add_co_u32_e32 v1, vcc, s3, v1
	s_cmp_lg_u64 vcc, 0
	s_addc_u32 s3, s6, s5
	s_ashr_i32 s20, s15, 31
	s_add_u32 s6, s14, s20
	s_mov_b32 s21, s20
	s_addc_u32 s7, s15, s20
	s_xor_b64 s[22:23], s[6:7], s[20:21]
	v_readfirstlane_b32 s7, v1
	s_mul_i32 s6, s22, s3
	s_mul_hi_u32 s10, s22, s7
	s_mul_hi_u32 s5, s22, s3
	s_add_u32 s6, s10, s6
	s_addc_u32 s5, 0, s5
	s_mul_hi_u32 s13, s23, s7
	s_mul_i32 s7, s23, s7
	s_add_u32 s6, s6, s7
	s_mul_hi_u32 s10, s23, s3
	s_addc_u32 s5, s5, s13
	s_addc_u32 s6, s10, 0
	s_mul_i32 s3, s23, s3
	s_add_u32 s3, s5, s3
	s_addc_u32 s5, 0, s6
	s_mul_i32 s5, s16, s5
	s_mul_hi_u32 s6, s16, s3
	s_add_i32 s5, s6, s5
	s_mul_i32 s6, s17, s3
	s_mul_i32 s3, s16, s3
	s_add_i32 s5, s5, s6
	v_mov_b32_e32 v1, s3
	s_sub_i32 s6, s23, s5
	v_sub_co_u32_e32 v1, vcc, s22, v1
	s_cmp_lg_u64 vcc, 0
	s_subb_u32 s3, s6, s17
	v_subrev_co_u32_e64 v2, s[6:7], s16, v1
	s_cmp_lg_u64 s[6:7], 0
	s_subb_u32 s10, s3, 0
	s_cmp_ge_u32 s10, s17
	v_readfirstlane_b32 s22, v2
	s_cselect_b32 s13, -1, 0
	s_cmp_ge_u32 s22, s16
	s_cselect_b32 s24, -1, 0
	s_cmp_eq_u32 s10, s17
	s_cselect_b32 s13, s24, s13
	s_cmp_lg_u64 s[6:7], 0
	s_subb_u32 s3, s3, s17
	v_subrev_co_u32_e64 v2, s[6:7], s16, v2
	s_cmp_lg_u64 s[6:7], 0
	s_subb_u32 s3, s3, 0
	s_cmp_lg_u32 s13, 0
	v_readfirstlane_b32 s6, v2
	s_cselect_b32 s6, s6, s22
	s_cselect_b32 s3, s3, s10
	s_cmp_lg_u64 vcc, 0
	s_subb_u32 s5, s23, s5
	s_cmp_ge_u32 s5, s17
	v_readfirstlane_b32 s10, v1
	s_cselect_b32 s7, -1, 0
	s_cmp_ge_u32 s10, s16
	s_cselect_b32 s13, -1, 0
	s_cmp_eq_u32 s5, s17
	s_cselect_b32 s7, s13, s7
	s_cmp_lg_u32 s7, 0
	s_cselect_b32 s7, s3, s5
	s_cselect_b32 s6, s6, s10
	s_xor_b64 s[6:7], s[6:7], s[20:21]
	s_sub_u32 s16, s6, s20
	s_subb_u32 s17, s7, s20
	s_cbranch_execnz .LBB57_3
.LBB57_2:
	v_cvt_f32_u32_e32 v1, s12
	s_sub_i32 s3, 0, s12
	s_mov_b32 s17, 0
	v_rcp_iflag_f32_e32 v1, v1
	s_nop 0
	v_mul_f32_e32 v1, 0x4f7ffffe, v1
	v_cvt_u32_f32_e32 v1, v1
	s_nop 0
	v_readfirstlane_b32 s5, v1
	s_mul_i32 s3, s3, s5
	s_mul_hi_u32 s3, s5, s3
	s_add_i32 s5, s5, s3
	s_mul_hi_u32 s3, s14, s5
	s_mul_i32 s3, s3, s12
	s_sub_i32 s3, s14, s3
	s_sub_i32 s5, s3, s12
	s_cmp_ge_u32 s3, s12
	s_cselect_b32 s3, s5, s3
	s_sub_i32 s5, s3, s12
	s_cmp_ge_u32 s3, s12
	s_cselect_b32 s16, s5, s3
.LBB57_3:
	v_cmp_lt_i64_e64 s[6:7], s[14:15], 0
	s_and_b64 vcc, exec, s[6:7]
	s_cbranch_vccnz .LBB57_11
; %bb.4:
	s_load_dword s5, s[0:1], 0x3c
	s_load_dword s3, s[0:1], 0x28
	v_bfe_u32 v1, v0, 10, 10
	v_and_b32_e32 v4, 0x3ff, v0
	s_ashr_i32 s19, s8, 31
	s_waitcnt lgkmcnt(0)
	s_lshr_b32 s6, s5, 16
	s_mul_i32 s4, s4, s6
	s_and_b32 s5, s5, 0xffff
	v_add_u32_e32 v0, s4, v1
	v_mul_lo_u32 v0, v0, s5
	v_add_lshl_u32 v0, v0, v4, 2
	v_mov_b32_e32 v1, 0
	s_mov_b32 s18, s8
	v_cmp_gt_i64_e32 vcc, s[18:19], v[0:1]
	s_and_saveexec_b64 s[4:5], vcc
	s_cbranch_execz .LBB57_11
; %bb.5:
	v_mov_b32_e32 v2, s2
	s_load_dwordx4 s[4:7], s[0:1], 0x0
	v_mad_u64_u32 v[2:3], s[0:1], s18, v2, v[0:1]
	s_mul_i32 s0, s19, s2
	s_nop 0
	v_add_u32_e32 v3, s0, v3
	v_lshlrev_b64 v[2:3], 1, v[2:3]
	v_and_b32_e32 v2, -8, v2
	s_waitcnt lgkmcnt(0)
	v_lshl_add_u64 v[2:3], s[4:5], 0, v[2:3]
	global_load_dwordx2 v[2:3], v[2:3], off
	v_mbcnt_lo_u32_b32 v5, -1, 0
	v_mbcnt_hi_u32_b32 v5, -1, v5
	v_and_b32_e32 v10, 64, v5
	v_xor_b32_e32 v11, 16, v5
	v_add_u32_e32 v10, 64, v10
	v_cmp_lt_i32_e32 vcc, v11, v10
	v_xor_b32_e32 v13, 8, v5
	s_mov_b32 s0, 0x38d1b717
	v_cndmask_b32_e32 v11, v5, v11, vcc
	v_lshlrev_b32_e32 v11, 2, v11
	v_cmp_lt_i32_e32 vcc, v13, v10
	s_bitcmp1_b32 s3, 0
	s_mov_b32 s3, 0x43600000
	v_cndmask_b32_e32 v13, v5, v13, vcc
	v_lshlrev_b32_e32 v13, 2, v13
	s_mov_b32 s4, 0x800000
	v_mov_b32_e32 v6, 0x4f800000
	v_mov_b32_e32 v7, 0x42000000
	s_mov_b32 s5, 0xc2fc0000
	v_mov_b32_e32 v8, 0x42800000
	v_mov_b32_e32 v9, 0x1f800000
	s_mul_i32 s10, s16, s19
	s_mul_hi_u32 s19, s16, s18
	s_mul_i32 s20, s17, s18
	s_mul_i32 s2, s16, s18
	s_mov_b32 s18, 0x7f800000
	s_mov_b32 s21, 0x43700000
	v_mov_b32_e32 v14, v1
	s_waitcnt vmcnt(0)
	v_max3_f32 v12, |v2|, 0, |v3|
	ds_bpermute_b32 v11, v11, v12
	s_waitcnt lgkmcnt(0)
	v_max_f32_e32 v11, v11, v11
	v_max_f32_e32 v11, v12, v11
	ds_bpermute_b32 v12, v13, v11
	v_xor_b32_e32 v13, 4, v5
	v_cmp_lt_i32_e32 vcc, v13, v10
	s_waitcnt lgkmcnt(0)
	v_max_f32_e32 v12, v12, v12
	v_cndmask_b32_e32 v13, v5, v13, vcc
	v_lshlrev_b32_e32 v13, 2, v13
	v_max_f32_e32 v11, v11, v12
	ds_bpermute_b32 v12, v13, v11
	v_xor_b32_e32 v13, 2, v5
	v_cmp_lt_i32_e32 vcc, v13, v10
	s_waitcnt lgkmcnt(0)
	v_max_f32_e32 v12, v12, v12
	v_cndmask_b32_e32 v13, v5, v13, vcc
	v_lshlrev_b32_e32 v13, 2, v13
	;; [unrolled: 8-line block ×3, first 2 shown]
	v_max_f32_e32 v10, v11, v10
	ds_bpermute_b32 v5, v5, v10
	v_mov_b32_e32 v11, 0xc3700000
	v_mov_b32_e32 v12, v1
	s_waitcnt lgkmcnt(0)
	v_max3_f32 v5, v10, v5, s0
	v_div_scale_f32 v10, s[0:1], s3, s3, v5
	v_rcp_f32_e32 v13, v10
	v_div_scale_f32 v15, vcc, v5, s3, v5
	v_fma_f32 v16, -v10, v13, 1.0
	v_fmac_f32_e32 v13, v16, v13
	v_mul_f32_e32 v16, v15, v13
	v_fma_f32 v17, -v10, v16, v15
	v_fmac_f32_e32 v16, v17, v13
	v_fma_f32 v10, -v10, v16, v15
	v_div_fmas_f32 v10, v10, v13, v16
	v_div_fixup_f32 v5, v10, s3, v5
	v_cmp_gt_f32_e32 vcc, s4, v5
	v_mov_b32_e32 v10, v1
	v_cvt_pk_fp8_f32 v10, s0, v0
	v_cndmask_b32_e32 v6, 1.0, v6, vcc
	v_mul_f32_e32 v6, v5, v6
	v_log_f32_e32 v6, v6
	v_cndmask_b32_e32 v7, 0, v7, vcc
	v_sub_f32_e32 v6, v6, v7
	v_ceil_f32_e32 v6, v6
	v_cmp_gt_f32_e32 vcc, s5, v6
	s_nop 1
	v_cndmask_b32_e32 v7, 0, v8, vcc
	v_add_f32_e32 v6, v6, v7
	v_exp_f32_e32 v6, v6
	v_cndmask_b32_e32 v8, 1.0, v9, vcc
	s_cselect_b64 vcc, -1, 0
	s_sub_u32 s0, s14, s16
	v_mul_f32_e32 v6, v6, v8
	v_cndmask_b32_e32 v6, v5, v6, vcc
	s_subb_u32 s1, s15, s17
	s_ashr_i32 s3, s11, 31
	s_mul_hi_u32 s4, s0, s11
	s_mul_i32 s13, s0, s11
	s_add_i32 s5, s19, s10
	s_mul_i32 s10, s0, s3
	s_mul_i32 s11, s1, s11
	v_div_scale_f32 v5, s[0:1], v6, v6, v2
	v_div_scale_f32 v9, s[0:1], v6, v6, v3
	v_rcp_f32_e32 v13, v5
	v_rcp_f32_e32 v15, v9
	v_lshlrev_b16_e32 v7, 8, v10
	v_div_scale_f32 v8, vcc, v2, v6, v2
	v_fma_f32 v16, -v5, v13, 1.0
	v_fma_f32 v17, -v9, v15, 1.0
	v_fmac_f32_e32 v13, v16, v13
	v_or_b32_sdwa v7, v10, v7 dst_sel:WORD_1 dst_unused:UNUSED_PAD src0_sel:BYTE_0 src1_sel:DWORD
	v_div_scale_f32 v10, s[0:1], v3, v6, v3
	v_fmac_f32_e32 v15, v17, v15
	v_mul_f32_e32 v16, v8, v13
	v_mul_f32_e32 v17, v10, v15
	v_fma_f32 v18, -v5, v16, v8
	v_fma_f32 v19, -v9, v17, v10
	v_fmac_f32_e32 v16, v18, v13
	v_fmac_f32_e32 v17, v19, v15
	v_fma_f32 v5, -v5, v16, v8
	v_fma_f32 v8, -v9, v17, v10
	v_div_fmas_f32 v5, v5, v13, v16
	s_mov_b64 vcc, s[0:1]
	v_div_fixup_f32 v2, v5, v6, v2
	v_div_fmas_f32 v5, v8, v15, v17
	v_med3_f32 v8, v2, s21, v11
	v_div_fixup_f32 v3, v5, v6, v3
	v_cmp_nlg_f32_e64 vcc, |v2|, s18
	v_med3_f32 v5, v3, s21, v11
	s_add_i32 s4, s4, s10
	v_cndmask_b32_e32 v2, v8, v2, vcc
	v_cmp_nlg_f32_e64 vcc, |v3|, s18
	s_add_i32 s3, s5, s20
	s_add_i32 s14, s4, s11
	v_cndmask_b32_e32 v3, v5, v3, vcc
	v_cvt_pk_fp8_f32 v14, v3, v3
	v_cvt_pk_fp8_f32 v12, v2, v2
	s_add_u32 s4, s6, s13
	s_addc_u32 s5, s7, s14
	s_add_u32 s4, s4, s2
	v_lshlrev_b16_e32 v5, 8, v14
	s_addc_u32 s5, s5, s3
	v_or_b32_sdwa v5, v12, v5 dst_sel:DWORD dst_unused:UNUSED_PAD src0_sel:BYTE_0 src1_sel:DWORD
	v_lshl_add_u64 v[2:3], s[4:5], 0, v[0:1]
	v_or_b32_sdwa v5, v5, v7 dst_sel:DWORD dst_unused:UNUSED_PAD src0_sel:WORD_0 src1_sel:DWORD
	v_cmp_eq_u32_e32 vcc, 0, v4
	global_store_dword v[2:3], v5, off
	s_and_b64 exec, exec, vcc
	s_cbranch_execz .LBB57_11
; %bb.6:
	v_lshl_add_u64 v[0:1], s[2:3], 0, v[0:1]
	v_lshlrev_b64 v[0:1], 2, v[0:1]
	s_ashr_i32 s0, s9, 31
	v_or_b32_e32 v3, s0, v1
	v_mov_b32_e32 v2, 0
	v_cmp_ne_u64_e32 vcc, 0, v[2:3]
                                        ; implicit-def: $vgpr4_vgpr5
	s_and_saveexec_b64 s[2:3], vcc
	s_xor_b64 s[2:3], exec, s[2:3]
	s_cbranch_execz .LBB57_8
; %bb.7:
	s_add_u32 s10, s9, s0
	s_mov_b32 s4, s0
	s_mov_b32 s5, s0
	s_addc_u32 s11, s0, s0
	s_xor_b64 s[10:11], s[10:11], s[4:5]
	v_cvt_f32_u32_e32 v3, s10
	v_cvt_f32_u32_e32 v4, s11
	s_sub_u32 s0, 0, s10
	s_subb_u32 s1, 0, s11
	v_mov_b32_e32 v9, v2
	v_fmamk_f32 v3, v4, 0x4f800000, v3
	v_rcp_f32_e32 v3, v3
	s_nop 0
	v_mul_f32_e32 v3, 0x5f7ffffc, v3
	v_mul_f32_e32 v4, 0x2f800000, v3
	v_trunc_f32_e32 v4, v4
	v_fmamk_f32 v3, v4, 0xcf800000, v3
	v_cvt_u32_f32_e32 v7, v4
	v_cvt_u32_f32_e32 v3, v3
	v_mul_lo_u32 v4, s0, v7
	v_mul_hi_u32 v8, s0, v3
	v_mul_lo_u32 v5, s1, v3
	v_add_u32_e32 v4, v8, v4
	v_mul_lo_u32 v10, s0, v3
	v_add_u32_e32 v11, v4, v5
	v_mul_hi_u32 v5, v3, v11
	v_mul_lo_u32 v4, v3, v11
	v_mul_hi_u32 v8, v3, v10
	v_lshl_add_u64 v[4:5], v[8:9], 0, v[4:5]
	v_mul_hi_u32 v9, v7, v10
	v_mul_lo_u32 v10, v7, v10
	v_add_co_u32_e32 v4, vcc, v4, v10
	v_mul_hi_u32 v8, v7, v11
	s_nop 0
	v_addc_co_u32_e32 v4, vcc, v5, v9, vcc
	v_mov_b32_e32 v5, v2
	s_nop 0
	v_addc_co_u32_e32 v9, vcc, 0, v8, vcc
	v_mul_lo_u32 v8, v7, v11
	v_lshl_add_u64 v[4:5], v[4:5], 0, v[8:9]
	v_add_co_u32_e32 v3, vcc, v3, v4
	v_mul_lo_u32 v8, s0, v3
	s_nop 0
	v_addc_co_u32_e32 v7, vcc, v7, v5, vcc
	v_mul_lo_u32 v4, s0, v7
	v_mul_hi_u32 v5, s0, v3
	v_add_u32_e32 v4, v5, v4
	v_mul_lo_u32 v5, s1, v3
	v_add_u32_e32 v10, v4, v5
	v_mul_hi_u32 v12, v7, v8
	v_mul_lo_u32 v13, v7, v8
	v_mul_hi_u32 v5, v3, v10
	v_mul_lo_u32 v4, v3, v10
	v_mul_hi_u32 v8, v3, v8
	v_mov_b32_e32 v9, v2
	v_lshl_add_u64 v[4:5], v[8:9], 0, v[4:5]
	v_add_co_u32_e32 v4, vcc, v4, v13
	v_mul_hi_u32 v11, v7, v10
	s_nop 0
	v_addc_co_u32_e32 v4, vcc, v5, v12, vcc
	v_mul_lo_u32 v8, v7, v10
	s_nop 0
	v_addc_co_u32_e32 v9, vcc, 0, v11, vcc
	v_mov_b32_e32 v5, v2
	v_lshl_add_u64 v[4:5], v[4:5], 0, v[8:9]
	v_add_co_u32_e32 v3, vcc, v3, v4
	v_ashrrev_i32_e32 v4, 31, v1
	s_nop 0
	v_addc_co_u32_e32 v7, vcc, v7, v5, vcc
	v_mov_b32_e32 v5, v4
	v_lshl_add_u64 v[0:1], v[0:1], 0, v[4:5]
	v_xor_b32_e32 v12, v0, v4
	v_xor_b32_e32 v5, v1, v4
	v_mad_u64_u32 v[0:1], s[0:1], v12, v7, 0
	v_mul_hi_u32 v8, v12, v3
	v_mov_b32_e32 v9, v2
	v_lshl_add_u64 v[0:1], v[8:9], 0, v[0:1]
	v_mad_u64_u32 v[10:11], s[0:1], v5, v3, 0
	v_add_co_u32_e32 v0, vcc, v0, v10
	v_mad_u64_u32 v[8:9], s[0:1], v5, v7, 0
	s_nop 0
	v_addc_co_u32_e32 v0, vcc, v1, v11, vcc
	v_mov_b32_e32 v1, v2
	s_nop 0
	v_addc_co_u32_e32 v9, vcc, 0, v9, vcc
	v_lshl_add_u64 v[0:1], v[0:1], 0, v[8:9]
	v_mul_lo_u32 v7, s11, v0
	v_mul_lo_u32 v8, s10, v1
	v_mad_u64_u32 v[2:3], s[0:1], s10, v0, 0
	v_add3_u32 v7, v3, v8, v7
	v_sub_u32_e32 v3, v5, v7
	v_mov_b32_e32 v8, s11
	v_sub_co_u32_e32 v10, vcc, v12, v2
	s_nop 1
	v_subb_co_u32_e64 v2, s[0:1], v3, v8, vcc
	v_subrev_co_u32_e64 v3, s[0:1], s10, v10
	v_subb_co_u32_e32 v5, vcc, v5, v7, vcc
	s_nop 0
	v_subbrev_co_u32_e64 v2, s[0:1], 0, v2, s[0:1]
	v_cmp_le_u32_e64 s[0:1], s11, v2
	v_cmp_le_u32_e32 vcc, s11, v5
	s_nop 0
	v_cndmask_b32_e64 v8, 0, -1, s[0:1]
	v_cmp_le_u32_e64 s[0:1], s10, v3
	v_cndmask_b32_e64 v7, 0, -1, vcc
	v_cmp_le_u32_e32 vcc, s10, v10
	v_cndmask_b32_e64 v3, 0, -1, s[0:1]
	v_cmp_eq_u32_e64 s[0:1], s11, v2
	s_nop 1
	v_cndmask_b32_e64 v11, v8, v3, s[0:1]
	v_lshl_add_u64 v[2:3], v[0:1], 0, 2
	v_lshl_add_u64 v[8:9], v[0:1], 0, 1
	v_cmp_ne_u32_e64 s[0:1], 0, v11
	s_nop 1
	v_cndmask_b32_e64 v3, v9, v3, s[0:1]
	v_cndmask_b32_e64 v9, 0, -1, vcc
	v_cmp_eq_u32_e32 vcc, s11, v5
	v_cndmask_b32_e64 v2, v8, v2, s[0:1]
	s_nop 0
	v_cndmask_b32_e32 v5, v7, v9, vcc
	v_cmp_ne_u32_e32 vcc, 0, v5
	s_nop 1
	v_cndmask_b32_e32 v1, v1, v3, vcc
	v_cndmask_b32_e32 v0, v0, v2, vcc
	v_xor_b32_e32 v3, s4, v4
	v_xor_b32_e32 v2, s5, v4
	;; [unrolled: 1-line block ×4, first 2 shown]
	v_sub_co_u32_e32 v4, vcc, v0, v3
	s_nop 1
	v_subb_co_u32_e32 v5, vcc, v1, v2, vcc
                                        ; implicit-def: $vgpr0_vgpr1
.LBB57_8:
	s_andn2_saveexec_b64 s[0:1], s[2:3]
	s_cbranch_execz .LBB57_10
; %bb.9:
	v_cvt_f32_u32_e32 v1, s9
	s_sub_i32 s2, 0, s9
	v_mov_b32_e32 v5, 0
	v_rcp_iflag_f32_e32 v1, v1
	s_nop 0
	v_mul_f32_e32 v1, 0x4f7ffffe, v1
	v_cvt_u32_f32_e32 v1, v1
	v_mul_lo_u32 v2, s2, v1
	v_mul_hi_u32 v2, v1, v2
	v_add_u32_e32 v1, v1, v2
	v_mul_hi_u32 v1, v0, v1
	v_mul_lo_u32 v2, v1, s9
	v_sub_u32_e32 v0, v0, v2
	v_add_u32_e32 v3, 1, v1
	v_subrev_u32_e32 v2, s9, v0
	v_cmp_le_u32_e32 vcc, s9, v0
	s_nop 1
	v_cndmask_b32_e32 v0, v0, v2, vcc
	v_cndmask_b32_e32 v1, v1, v3, vcc
	v_add_u32_e32 v2, 1, v1
	v_cmp_le_u32_e32 vcc, s9, v0
	s_nop 1
	v_cndmask_b32_e32 v4, v1, v2, vcc
.LBB57_10:
	s_or_b64 exec, exec, s[0:1]
	s_mul_i32 s0, s12, s8
	s_ashr_i32 s1, s0, 31
	s_add_u32 s0, s13, s0
	s_addc_u32 s1, s14, s1
	v_lshl_add_u64 v[0:1], s[0:1], 0, v[4:5]
	v_ashrrev_i32_e32 v2, 31, v1
	v_lshrrev_b32_e32 v2, 30, v2
	v_mov_b32_e32 v3, 0
	v_lshl_add_u64 v[0:1], v[0:1], 0, v[2:3]
	v_and_b32_e32 v0, -4, v0
	v_lshl_add_u64 v[0:1], s[6:7], 0, v[0:1]
	global_store_dword v[0:1], v6, off
.LBB57_11:
	s_endpgm
.LBB57_12:
                                        ; implicit-def: $sgpr16_sgpr17
	s_branch .LBB57_2
	.section	.rodata,"a",@progbits
	.p2align	6, 0x0
	.amdhsa_kernel _ZN4vllm32indexer_k_quant_and_cache_kernelIfhLNS_18Fp8KVCacheDataTypeE1EEEvPKT_PT0_PKliiiib
		.amdhsa_group_segment_fixed_size 0
		.amdhsa_private_segment_fixed_size 0
		.amdhsa_kernarg_size 304
		.amdhsa_user_sgpr_count 2
		.amdhsa_user_sgpr_dispatch_ptr 0
		.amdhsa_user_sgpr_queue_ptr 0
		.amdhsa_user_sgpr_kernarg_segment_ptr 1
		.amdhsa_user_sgpr_dispatch_id 0
		.amdhsa_user_sgpr_kernarg_preload_length 0
		.amdhsa_user_sgpr_kernarg_preload_offset 0
		.amdhsa_user_sgpr_private_segment_size 0
		.amdhsa_uses_dynamic_stack 0
		.amdhsa_enable_private_segment 0
		.amdhsa_system_sgpr_workgroup_id_x 1
		.amdhsa_system_sgpr_workgroup_id_y 1
		.amdhsa_system_sgpr_workgroup_id_z 0
		.amdhsa_system_sgpr_workgroup_info 0
		.amdhsa_system_vgpr_workitem_id 1
		.amdhsa_next_free_vgpr 20
		.amdhsa_next_free_sgpr 25
		.amdhsa_accum_offset 20
		.amdhsa_reserve_vcc 1
		.amdhsa_float_round_mode_32 0
		.amdhsa_float_round_mode_16_64 0
		.amdhsa_float_denorm_mode_32 3
		.amdhsa_float_denorm_mode_16_64 3
		.amdhsa_dx10_clamp 1
		.amdhsa_ieee_mode 1
		.amdhsa_fp16_overflow 0
		.amdhsa_tg_split 0
		.amdhsa_exception_fp_ieee_invalid_op 0
		.amdhsa_exception_fp_denorm_src 0
		.amdhsa_exception_fp_ieee_div_zero 0
		.amdhsa_exception_fp_ieee_overflow 0
		.amdhsa_exception_fp_ieee_underflow 0
		.amdhsa_exception_fp_ieee_inexact 0
		.amdhsa_exception_int_div_zero 0
	.end_amdhsa_kernel
	.section	.text._ZN4vllm32indexer_k_quant_and_cache_kernelIfhLNS_18Fp8KVCacheDataTypeE1EEEvPKT_PT0_PKliiiib,"axG",@progbits,_ZN4vllm32indexer_k_quant_and_cache_kernelIfhLNS_18Fp8KVCacheDataTypeE1EEEvPKT_PT0_PKliiiib,comdat
.Lfunc_end57:
	.size	_ZN4vllm32indexer_k_quant_and_cache_kernelIfhLNS_18Fp8KVCacheDataTypeE1EEEvPKT_PT0_PKliiiib, .Lfunc_end57-_ZN4vllm32indexer_k_quant_and_cache_kernelIfhLNS_18Fp8KVCacheDataTypeE1EEEvPKT_PT0_PKliiiib
                                        ; -- End function
	.section	.AMDGPU.csdata,"",@progbits
; Kernel info:
; codeLenInByte = 2692
; NumSgprs: 31
; NumVgprs: 20
; NumAgprs: 0
; TotalNumVgprs: 20
; ScratchSize: 0
; MemoryBound: 0
; FloatMode: 240
; IeeeMode: 1
; LDSByteSize: 0 bytes/workgroup (compile time only)
; SGPRBlocks: 3
; VGPRBlocks: 2
; NumSGPRsForWavesPerEU: 31
; NumVGPRsForWavesPerEU: 20
; AccumOffset: 20
; Occupancy: 8
; WaveLimiterHint : 0
; COMPUTE_PGM_RSRC2:SCRATCH_EN: 0
; COMPUTE_PGM_RSRC2:USER_SGPR: 2
; COMPUTE_PGM_RSRC2:TRAP_HANDLER: 0
; COMPUTE_PGM_RSRC2:TGID_X_EN: 1
; COMPUTE_PGM_RSRC2:TGID_Y_EN: 1
; COMPUTE_PGM_RSRC2:TGID_Z_EN: 0
; COMPUTE_PGM_RSRC2:TIDIG_COMP_CNT: 1
; COMPUTE_PGM_RSRC3_GFX90A:ACCUM_OFFSET: 4
; COMPUTE_PGM_RSRC3_GFX90A:TG_SPLIT: 0
	.section	.text._ZN4vllm32indexer_k_quant_and_cache_kernelIthLNS_18Fp8KVCacheDataTypeE1EEEvPKT_PT0_PKliiiib,"axG",@progbits,_ZN4vllm32indexer_k_quant_and_cache_kernelIthLNS_18Fp8KVCacheDataTypeE1EEEvPKT_PT0_PKliiiib,comdat
	.protected	_ZN4vllm32indexer_k_quant_and_cache_kernelIthLNS_18Fp8KVCacheDataTypeE1EEEvPKT_PT0_PKliiiib ; -- Begin function _ZN4vllm32indexer_k_quant_and_cache_kernelIthLNS_18Fp8KVCacheDataTypeE1EEEvPKT_PT0_PKliiiib
	.globl	_ZN4vllm32indexer_k_quant_and_cache_kernelIthLNS_18Fp8KVCacheDataTypeE1EEEvPKT_PT0_PKliiiib
	.p2align	8
	.type	_ZN4vllm32indexer_k_quant_and_cache_kernelIthLNS_18Fp8KVCacheDataTypeE1EEEvPKT_PT0_PKliiiib,@function
_ZN4vllm32indexer_k_quant_and_cache_kernelIthLNS_18Fp8KVCacheDataTypeE1EEEvPKT_PT0_PKliiiib: ; @_ZN4vllm32indexer_k_quant_and_cache_kernelIthLNS_18Fp8KVCacheDataTypeE1EEEvPKT_PT0_PKliiiib
; %bb.0:
	s_load_dwordx2 s[6:7], s[0:1], 0x10
	s_load_dwordx4 s[8:11], s[0:1], 0x18
	s_mov_b32 s4, s3
	s_mov_b32 s3, 0
	s_lshl_b64 s[12:13], s[2:3], 3
	s_waitcnt lgkmcnt(0)
	s_add_u32 s6, s6, s12
	s_addc_u32 s7, s7, s13
	s_load_dwordx2 s[14:15], s[6:7], 0x0
	s_ashr_i32 s13, s10, 31
	s_mov_b32 s12, s10
	s_waitcnt lgkmcnt(0)
	s_or_b64 s[6:7], s[14:15], s[12:13]
	s_mov_b32 s6, s3
	s_cmp_lg_u64 s[6:7], 0
	s_cbranch_scc0 .LBB58_12
; %bb.1:
	s_add_u32 s16, s12, s13
	s_mov_b32 s6, s13
	s_mov_b32 s7, s13
	s_addc_u32 s17, s13, s13
	s_xor_b64 s[16:17], s[16:17], s[6:7]
	v_cvt_f32_u32_e32 v1, s16
	v_cvt_f32_u32_e32 v2, s17
	s_sub_u32 s3, 0, s16
	s_subb_u32 s5, 0, s17
	v_fmamk_f32 v1, v2, 0x4f800000, v1
	v_rcp_f32_e32 v1, v1
	s_nop 0
	v_mul_f32_e32 v1, 0x5f7ffffc, v1
	v_mul_f32_e32 v2, 0x2f800000, v1
	v_trunc_f32_e32 v2, v2
	v_fmamk_f32 v1, v2, 0xcf800000, v1
	v_cvt_u32_f32_e32 v2, v2
	v_cvt_u32_f32_e32 v1, v1
	v_readfirstlane_b32 s6, v2
	v_readfirstlane_b32 s7, v1
	s_mul_i32 s10, s3, s6
	s_mul_hi_u32 s20, s3, s7
	s_mul_i32 s13, s5, s7
	s_add_i32 s10, s20, s10
	s_add_i32 s10, s10, s13
	s_mul_i32 s21, s3, s7
	s_mul_hi_u32 s13, s7, s10
	s_mul_i32 s20, s7, s10
	s_mul_hi_u32 s7, s7, s21
	s_add_u32 s7, s7, s20
	s_addc_u32 s13, 0, s13
	s_mul_hi_u32 s22, s6, s21
	s_mul_i32 s21, s6, s21
	s_add_u32 s7, s7, s21
	s_mul_hi_u32 s20, s6, s10
	s_addc_u32 s7, s13, s22
	s_addc_u32 s13, s20, 0
	s_mul_i32 s10, s6, s10
	s_add_u32 s7, s7, s10
	s_addc_u32 s10, 0, s13
	v_add_co_u32_e32 v1, vcc, s7, v1
	s_cmp_lg_u64 vcc, 0
	s_addc_u32 s6, s6, s10
	v_readfirstlane_b32 s10, v1
	s_mul_i32 s7, s3, s6
	s_mul_hi_u32 s13, s3, s10
	s_add_i32 s7, s13, s7
	s_mul_i32 s5, s5, s10
	s_add_i32 s7, s7, s5
	s_mul_i32 s3, s3, s10
	s_mul_hi_u32 s13, s6, s3
	s_mul_i32 s20, s6, s3
	s_mul_i32 s22, s10, s7
	s_mul_hi_u32 s3, s10, s3
	s_mul_hi_u32 s21, s10, s7
	s_add_u32 s3, s3, s22
	s_addc_u32 s10, 0, s21
	s_add_u32 s3, s3, s20
	s_mul_hi_u32 s5, s6, s7
	s_addc_u32 s3, s10, s13
	s_addc_u32 s5, s5, 0
	s_mul_i32 s7, s6, s7
	s_add_u32 s3, s3, s7
	s_addc_u32 s5, 0, s5
	v_add_co_u32_e32 v1, vcc, s3, v1
	s_cmp_lg_u64 vcc, 0
	s_addc_u32 s3, s6, s5
	s_ashr_i32 s20, s15, 31
	s_add_u32 s6, s14, s20
	s_mov_b32 s21, s20
	s_addc_u32 s7, s15, s20
	s_xor_b64 s[22:23], s[6:7], s[20:21]
	v_readfirstlane_b32 s7, v1
	s_mul_i32 s6, s22, s3
	s_mul_hi_u32 s10, s22, s7
	s_mul_hi_u32 s5, s22, s3
	s_add_u32 s6, s10, s6
	s_addc_u32 s5, 0, s5
	s_mul_hi_u32 s13, s23, s7
	s_mul_i32 s7, s23, s7
	s_add_u32 s6, s6, s7
	s_mul_hi_u32 s10, s23, s3
	s_addc_u32 s5, s5, s13
	s_addc_u32 s6, s10, 0
	s_mul_i32 s3, s23, s3
	s_add_u32 s3, s5, s3
	s_addc_u32 s5, 0, s6
	s_mul_i32 s5, s16, s5
	s_mul_hi_u32 s6, s16, s3
	s_add_i32 s5, s6, s5
	s_mul_i32 s6, s17, s3
	s_mul_i32 s3, s16, s3
	s_add_i32 s5, s5, s6
	v_mov_b32_e32 v1, s3
	s_sub_i32 s6, s23, s5
	v_sub_co_u32_e32 v1, vcc, s22, v1
	s_cmp_lg_u64 vcc, 0
	s_subb_u32 s3, s6, s17
	v_subrev_co_u32_e64 v2, s[6:7], s16, v1
	s_cmp_lg_u64 s[6:7], 0
	s_subb_u32 s10, s3, 0
	s_cmp_ge_u32 s10, s17
	v_readfirstlane_b32 s22, v2
	s_cselect_b32 s13, -1, 0
	s_cmp_ge_u32 s22, s16
	s_cselect_b32 s24, -1, 0
	s_cmp_eq_u32 s10, s17
	s_cselect_b32 s13, s24, s13
	s_cmp_lg_u64 s[6:7], 0
	s_subb_u32 s3, s3, s17
	v_subrev_co_u32_e64 v2, s[6:7], s16, v2
	s_cmp_lg_u64 s[6:7], 0
	s_subb_u32 s3, s3, 0
	s_cmp_lg_u32 s13, 0
	v_readfirstlane_b32 s6, v2
	s_cselect_b32 s6, s6, s22
	s_cselect_b32 s3, s3, s10
	s_cmp_lg_u64 vcc, 0
	s_subb_u32 s5, s23, s5
	s_cmp_ge_u32 s5, s17
	v_readfirstlane_b32 s10, v1
	s_cselect_b32 s7, -1, 0
	s_cmp_ge_u32 s10, s16
	s_cselect_b32 s13, -1, 0
	s_cmp_eq_u32 s5, s17
	s_cselect_b32 s7, s13, s7
	s_cmp_lg_u32 s7, 0
	s_cselect_b32 s7, s3, s5
	s_cselect_b32 s6, s6, s10
	s_xor_b64 s[6:7], s[6:7], s[20:21]
	s_sub_u32 s16, s6, s20
	s_subb_u32 s17, s7, s20
	s_cbranch_execnz .LBB58_3
.LBB58_2:
	v_cvt_f32_u32_e32 v1, s12
	s_sub_i32 s3, 0, s12
	s_mov_b32 s17, 0
	v_rcp_iflag_f32_e32 v1, v1
	s_nop 0
	v_mul_f32_e32 v1, 0x4f7ffffe, v1
	v_cvt_u32_f32_e32 v1, v1
	s_nop 0
	v_readfirstlane_b32 s5, v1
	s_mul_i32 s3, s3, s5
	s_mul_hi_u32 s3, s5, s3
	s_add_i32 s5, s5, s3
	s_mul_hi_u32 s3, s14, s5
	s_mul_i32 s3, s3, s12
	s_sub_i32 s3, s14, s3
	s_sub_i32 s5, s3, s12
	s_cmp_ge_u32 s3, s12
	s_cselect_b32 s3, s5, s3
	s_sub_i32 s5, s3, s12
	s_cmp_ge_u32 s3, s12
	s_cselect_b32 s16, s5, s3
.LBB58_3:
	v_cmp_lt_i64_e64 s[6:7], s[14:15], 0
	s_and_b64 vcc, exec, s[6:7]
	s_cbranch_vccnz .LBB58_11
; %bb.4:
	s_load_dword s5, s[0:1], 0x3c
	s_load_dword s3, s[0:1], 0x28
	v_bfe_u32 v1, v0, 10, 10
	v_and_b32_e32 v4, 0x3ff, v0
	s_ashr_i32 s19, s8, 31
	s_waitcnt lgkmcnt(0)
	s_lshr_b32 s6, s5, 16
	s_mul_i32 s4, s4, s6
	s_and_b32 s5, s5, 0xffff
	v_add_u32_e32 v0, s4, v1
	v_mul_lo_u32 v0, v0, s5
	v_add_lshl_u32 v0, v0, v4, 2
	v_mov_b32_e32 v1, 0
	s_mov_b32 s18, s8
	v_cmp_gt_i64_e32 vcc, s[18:19], v[0:1]
	s_and_saveexec_b64 s[4:5], vcc
	s_cbranch_execz .LBB58_11
; %bb.5:
	v_mov_b32_e32 v2, s2
	s_load_dwordx4 s[4:7], s[0:1], 0x0
	v_mad_u64_u32 v[2:3], s[0:1], s18, v2, v[0:1]
	s_mul_i32 s0, s19, s2
	s_nop 0
	v_add_u32_e32 v3, s0, v3
	v_lshlrev_b64 v[2:3], 1, v[2:3]
	v_and_b32_e32 v2, -8, v2
	s_waitcnt lgkmcnt(0)
	v_lshl_add_u64 v[2:3], s[4:5], 0, v[2:3]
	global_load_dwordx2 v[2:3], v[2:3], off
	v_mbcnt_lo_u32_b32 v5, -1, 0
	v_mbcnt_hi_u32_b32 v5, -1, v5
	v_and_b32_e32 v10, 64, v5
	v_xor_b32_e32 v11, 16, v5
	v_add_u32_e32 v10, 64, v10
	v_cmp_lt_i32_e32 vcc, v11, v10
	s_mov_b32 s0, 0x38d1b717
	s_mov_b32 s2, 0x43600000
	v_cndmask_b32_e32 v11, v5, v11, vcc
	v_lshlrev_b32_e32 v11, 2, v11
	s_bitcmp1_b32 s3, 0
	s_mov_b32 s3, 0x800000
	v_mov_b32_e32 v6, 0x4f800000
	v_mov_b32_e32 v7, 0x42000000
	s_mov_b32 s5, 0xc2fc0000
	v_mov_b32_e32 v8, 0x42800000
	v_mov_b32_e32 v9, 0x1f800000
	s_mul_i32 s10, s16, s19
	s_mul_hi_u32 s19, s16, s18
	s_mul_i32 s4, s16, s18
	s_mul_i32 s20, s17, s18
	s_mov_b32 s18, 0x7f800000
	s_mov_b32 s21, 0x43700000
	s_waitcnt vmcnt(0)
	v_cvt_f32_u32_sdwa v12, v2 dst_sel:DWORD dst_unused:UNUSED_PAD src0_sel:WORD_0
	v_cvt_f32_u32_sdwa v13, v2 dst_sel:DWORD dst_unused:UNUSED_PAD src0_sel:WORD_1
	v_cvt_f32_u32_sdwa v14, v3 dst_sel:DWORD dst_unused:UNUSED_PAD src0_sel:WORD_0
	v_cvt_f32_u32_sdwa v15, v3 dst_sel:DWORD dst_unused:UNUSED_PAD src0_sel:WORD_1
	v_max3_f32 v12, v12, 0, v13
	v_xor_b32_e32 v13, 8, v5
	v_max3_f32 v12, v12, v14, v15
	ds_bpermute_b32 v11, v11, v12
	v_cmp_lt_i32_e32 vcc, v13, v10
	s_waitcnt lgkmcnt(0)
	v_max_f32_e32 v11, v11, v11
	v_cndmask_b32_e32 v13, v5, v13, vcc
	v_lshlrev_b32_e32 v13, 2, v13
	v_max_f32_e32 v11, v12, v11
	ds_bpermute_b32 v12, v13, v11
	v_xor_b32_e32 v13, 4, v5
	v_cmp_lt_i32_e32 vcc, v13, v10
	s_waitcnt lgkmcnt(0)
	v_max_f32_e32 v12, v12, v12
	v_cndmask_b32_e32 v13, v5, v13, vcc
	v_lshlrev_b32_e32 v13, 2, v13
	v_max_f32_e32 v11, v11, v12
	ds_bpermute_b32 v12, v13, v11
	v_xor_b32_e32 v13, 2, v5
	;; [unrolled: 8-line block ×3, first 2 shown]
	v_cmp_lt_i32_e32 vcc, v13, v10
	s_waitcnt lgkmcnt(0)
	v_max_f32_e32 v10, v12, v12
	v_cndmask_b32_e32 v5, v5, v13, vcc
	v_lshlrev_b32_e32 v5, 2, v5
	v_max_f32_e32 v10, v11, v10
	ds_bpermute_b32 v5, v5, v10
	v_mov_b32_e32 v11, 0xc3700000
	v_mov_b32_e32 v13, v1
	s_waitcnt lgkmcnt(0)
	v_max3_f32 v5, v10, v5, s0
	v_div_scale_f32 v10, s[0:1], s2, s2, v5
	v_rcp_f32_e32 v12, v10
	v_div_scale_f32 v14, vcc, v5, s2, v5
	v_fma_f32 v15, -v10, v12, 1.0
	v_fmac_f32_e32 v12, v15, v12
	v_mul_f32_e32 v15, v14, v12
	v_fma_f32 v16, -v10, v15, v14
	v_fmac_f32_e32 v15, v16, v12
	v_fma_f32 v10, -v10, v15, v14
	v_div_fmas_f32 v10, v10, v12, v15
	v_div_fixup_f32 v5, v10, s2, v5
	v_cmp_gt_f32_e32 vcc, s3, v5
	v_cvt_f32_f16_e32 v10, v2
	v_cvt_f32_f16_sdwa v2, v2 dst_sel:DWORD dst_unused:UNUSED_PAD src0_sel:WORD_1
	v_cndmask_b32_e32 v6, 1.0, v6, vcc
	v_mul_f32_e32 v6, v5, v6
	v_log_f32_e32 v6, v6
	v_cndmask_b32_e32 v7, 0, v7, vcc
	v_sub_f32_e32 v6, v6, v7
	v_ceil_f32_e32 v6, v6
	v_cmp_gt_f32_e32 vcc, s5, v6
	s_nop 1
	v_cndmask_b32_e32 v7, 0, v8, vcc
	v_add_f32_e32 v6, v6, v7
	v_exp_f32_e32 v6, v6
	v_cvt_f32_f16_e32 v7, v3
	v_cvt_f32_f16_sdwa v8, v3 dst_sel:DWORD dst_unused:UNUSED_PAD src0_sel:WORD_1
	v_cndmask_b32_e32 v3, 1.0, v9, vcc
	v_mul_f32_e32 v3, v6, v3
	s_cselect_b64 vcc, -1, 0
	s_sub_u32 s0, s14, s16
	v_cndmask_b32_e32 v6, v5, v3, vcc
	s_subb_u32 s1, s15, s17
	s_ashr_i32 s2, s11, 31
	s_mul_hi_u32 s14, s0, s11
	s_mul_i32 s13, s0, s11
	s_mul_i32 s15, s0, s2
	;; [unrolled: 1-line block ×3, first 2 shown]
	v_div_scale_f32 v3, s[0:1], v6, v6, v10
	v_div_scale_f32 v9, s[0:1], v6, v6, v2
	v_rcp_f32_e32 v17, v3
	s_add_i32 s3, s19, s10
	v_rcp_f32_e32 v18, v9
	s_add_i32 s5, s3, s20
	v_div_scale_f32 v14, s[2:3], v6, v6, v7
	v_rcp_f32_e32 v19, v14
	v_fma_f32 v21, -v3, v17, 1.0
	v_div_scale_f32 v5, vcc, v10, v6, v10
	v_fma_f32 v22, -v9, v18, 1.0
	v_fmac_f32_e32 v17, v21, v17
	v_div_scale_f32 v12, s[0:1], v2, v6, v2
	v_fmac_f32_e32 v18, v22, v18
	v_mul_f32_e32 v21, v5, v17
	v_fma_f32 v23, -v14, v19, 1.0
	v_mul_f32_e32 v22, v12, v18
	v_fma_f32 v25, -v3, v21, v5
	v_div_scale_f32 v15, s[2:3], v7, v6, v7
	v_fmac_f32_e32 v19, v23, v19
	v_fma_f32 v26, -v9, v22, v12
	v_fmac_f32_e32 v21, v25, v17
	v_mul_f32_e32 v23, v15, v19
	v_fmac_f32_e32 v22, v26, v18
	v_fma_f32 v3, -v3, v21, v5
	v_fma_f32 v27, -v14, v23, v15
	;; [unrolled: 1-line block ×3, first 2 shown]
	v_div_fmas_f32 v3, v3, v17, v21
	s_mov_b64 vcc, s[0:1]
	v_fmac_f32_e32 v23, v27, v19
	v_div_fixup_f32 v3, v3, v6, v10
	v_div_fmas_f32 v5, v5, v18, v22
	v_fma_f32 v9, -v14, v23, v15
	v_cvt_f16_f32_e32 v3, v3
	v_div_fixup_f32 v2, v5, v6, v2
	s_mov_b64 vcc, s[2:3]
	v_div_fmas_f32 v5, v9, v19, v23
	v_cvt_f16_f32_e32 v9, v2
	v_div_scale_f32 v16, s[10:11], v6, v6, v8
	v_div_fixup_f32 v2, v5, v6, v7
	v_cvt_f32_f16_e32 v7, v3
	v_rcp_f32_e32 v20, v16
	v_cvt_f32_f16_e32 v9, v9
	v_cvt_f16_f32_e32 v5, v2
	v_med3_f32 v10, v7, s21, v11
	v_cmp_nlg_f32_e64 vcc, |v7|, s18
	v_fma_f32 v24, -v16, v20, 1.0
	v_fmac_f32_e32 v20, v24, v20
	v_cndmask_b32_e32 v7, v10, v7, vcc
	v_med3_f32 v10, v9, s21, v11
	v_cmp_nlg_f32_e64 vcc, |v9|, s18
	v_cvt_pk_fp8_f32 v13, v7, v7
	v_cvt_f32_f16_e32 v5, v5
	v_cndmask_b32_e32 v7, v10, v9, vcc
	v_div_scale_f32 v9, vcc, v8, v6, v8
	v_mul_f32_e32 v10, v9, v20
	v_fma_f32 v12, -v16, v10, v9
	v_fmac_f32_e32 v10, v12, v20
	v_fma_f32 v9, -v16, v10, v9
	v_div_fmas_f32 v9, v9, v20, v10
	v_div_fixup_f32 v8, v9, v6, v8
	v_cvt_f16_f32_e32 v8, v8
	v_mov_b32_e32 v9, v1
	v_cvt_pk_fp8_f32 v9, v7, v7
	v_med3_f32 v7, v5, s21, v11
	v_cvt_f32_f16_e32 v8, v8
	v_cmp_nlg_f32_e64 vcc, |v5|, s18
	s_add_i32 s10, s14, s15
	s_add_i32 s14, s10, s16
	v_cndmask_b32_e32 v5, v7, v5, vcc
	v_med3_f32 v10, v8, s21, v11
	v_cmp_nlg_f32_e64 vcc, |v8|, s18
	v_mov_b32_e32 v7, v1
	v_cvt_pk_fp8_f32 v7, v5, v5
	v_cndmask_b32_e32 v8, v10, v8, vcc
	v_mov_b32_e32 v10, v1
	v_cvt_pk_fp8_f32 v10, v8, v8
	s_add_u32 s10, s6, s13
	s_addc_u32 s11, s7, s14
	s_add_u32 s10, s10, s4
	v_lshlrev_b16_e32 v5, 8, v9
	v_lshlrev_b16_e32 v8, 8, v10
	s_addc_u32 s11, s11, s5
	v_or_b32_sdwa v5, v13, v5 dst_sel:DWORD dst_unused:UNUSED_PAD src0_sel:BYTE_0 src1_sel:DWORD
	v_or_b32_sdwa v7, v7, v8 dst_sel:WORD_1 dst_unused:UNUSED_PAD src0_sel:BYTE_0 src1_sel:DWORD
	v_lshl_add_u64 v[2:3], s[10:11], 0, v[0:1]
	v_or_b32_sdwa v5, v5, v7 dst_sel:DWORD dst_unused:UNUSED_PAD src0_sel:WORD_0 src1_sel:DWORD
	v_cmp_eq_u32_e32 vcc, 0, v4
	global_store_dword v[2:3], v5, off
	s_and_b64 exec, exec, vcc
	s_cbranch_execz .LBB58_11
; %bb.6:
	v_lshl_add_u64 v[0:1], s[4:5], 0, v[0:1]
	v_lshlrev_b64 v[0:1], 2, v[0:1]
	s_ashr_i32 s0, s9, 31
	v_or_b32_e32 v3, s0, v1
	v_mov_b32_e32 v2, 0
	v_cmp_ne_u64_e32 vcc, 0, v[2:3]
                                        ; implicit-def: $vgpr4_vgpr5
	s_and_saveexec_b64 s[2:3], vcc
	s_xor_b64 s[2:3], exec, s[2:3]
	s_cbranch_execz .LBB58_8
; %bb.7:
	s_add_u32 s10, s9, s0
	s_mov_b32 s4, s0
	s_mov_b32 s5, s0
	s_addc_u32 s11, s0, s0
	s_xor_b64 s[10:11], s[10:11], s[4:5]
	v_cvt_f32_u32_e32 v3, s10
	v_cvt_f32_u32_e32 v4, s11
	s_sub_u32 s0, 0, s10
	s_subb_u32 s1, 0, s11
	v_mov_b32_e32 v9, v2
	v_fmamk_f32 v3, v4, 0x4f800000, v3
	v_rcp_f32_e32 v3, v3
	s_nop 0
	v_mul_f32_e32 v3, 0x5f7ffffc, v3
	v_mul_f32_e32 v4, 0x2f800000, v3
	v_trunc_f32_e32 v4, v4
	v_fmamk_f32 v3, v4, 0xcf800000, v3
	v_cvt_u32_f32_e32 v7, v4
	v_cvt_u32_f32_e32 v3, v3
	v_mul_lo_u32 v4, s0, v7
	v_mul_hi_u32 v8, s0, v3
	v_mul_lo_u32 v5, s1, v3
	v_add_u32_e32 v4, v8, v4
	v_mul_lo_u32 v10, s0, v3
	v_add_u32_e32 v11, v4, v5
	v_mul_hi_u32 v5, v3, v11
	v_mul_lo_u32 v4, v3, v11
	v_mul_hi_u32 v8, v3, v10
	v_lshl_add_u64 v[4:5], v[8:9], 0, v[4:5]
	v_mul_hi_u32 v9, v7, v10
	v_mul_lo_u32 v10, v7, v10
	v_add_co_u32_e32 v4, vcc, v4, v10
	v_mul_hi_u32 v8, v7, v11
	s_nop 0
	v_addc_co_u32_e32 v4, vcc, v5, v9, vcc
	v_mov_b32_e32 v5, v2
	s_nop 0
	v_addc_co_u32_e32 v9, vcc, 0, v8, vcc
	v_mul_lo_u32 v8, v7, v11
	v_lshl_add_u64 v[4:5], v[4:5], 0, v[8:9]
	v_add_co_u32_e32 v3, vcc, v3, v4
	v_mul_lo_u32 v8, s0, v3
	s_nop 0
	v_addc_co_u32_e32 v7, vcc, v7, v5, vcc
	v_mul_lo_u32 v4, s0, v7
	v_mul_hi_u32 v5, s0, v3
	v_add_u32_e32 v4, v5, v4
	v_mul_lo_u32 v5, s1, v3
	v_add_u32_e32 v10, v4, v5
	v_mul_hi_u32 v12, v7, v8
	v_mul_lo_u32 v13, v7, v8
	v_mul_hi_u32 v5, v3, v10
	v_mul_lo_u32 v4, v3, v10
	v_mul_hi_u32 v8, v3, v8
	v_mov_b32_e32 v9, v2
	v_lshl_add_u64 v[4:5], v[8:9], 0, v[4:5]
	v_add_co_u32_e32 v4, vcc, v4, v13
	v_mul_hi_u32 v11, v7, v10
	s_nop 0
	v_addc_co_u32_e32 v4, vcc, v5, v12, vcc
	v_mul_lo_u32 v8, v7, v10
	s_nop 0
	v_addc_co_u32_e32 v9, vcc, 0, v11, vcc
	v_mov_b32_e32 v5, v2
	v_lshl_add_u64 v[4:5], v[4:5], 0, v[8:9]
	v_add_co_u32_e32 v3, vcc, v3, v4
	v_ashrrev_i32_e32 v4, 31, v1
	s_nop 0
	v_addc_co_u32_e32 v7, vcc, v7, v5, vcc
	v_mov_b32_e32 v5, v4
	v_lshl_add_u64 v[0:1], v[0:1], 0, v[4:5]
	v_xor_b32_e32 v12, v0, v4
	v_xor_b32_e32 v5, v1, v4
	v_mad_u64_u32 v[0:1], s[0:1], v12, v7, 0
	v_mul_hi_u32 v8, v12, v3
	v_mov_b32_e32 v9, v2
	v_lshl_add_u64 v[0:1], v[8:9], 0, v[0:1]
	v_mad_u64_u32 v[10:11], s[0:1], v5, v3, 0
	v_add_co_u32_e32 v0, vcc, v0, v10
	v_mad_u64_u32 v[8:9], s[0:1], v5, v7, 0
	s_nop 0
	v_addc_co_u32_e32 v0, vcc, v1, v11, vcc
	v_mov_b32_e32 v1, v2
	s_nop 0
	v_addc_co_u32_e32 v9, vcc, 0, v9, vcc
	v_lshl_add_u64 v[0:1], v[0:1], 0, v[8:9]
	v_mul_lo_u32 v7, s11, v0
	v_mul_lo_u32 v8, s10, v1
	v_mad_u64_u32 v[2:3], s[0:1], s10, v0, 0
	v_add3_u32 v7, v3, v8, v7
	v_sub_u32_e32 v3, v5, v7
	v_mov_b32_e32 v8, s11
	v_sub_co_u32_e32 v10, vcc, v12, v2
	s_nop 1
	v_subb_co_u32_e64 v2, s[0:1], v3, v8, vcc
	v_subrev_co_u32_e64 v3, s[0:1], s10, v10
	v_subb_co_u32_e32 v5, vcc, v5, v7, vcc
	s_nop 0
	v_subbrev_co_u32_e64 v2, s[0:1], 0, v2, s[0:1]
	v_cmp_le_u32_e64 s[0:1], s11, v2
	v_cmp_le_u32_e32 vcc, s11, v5
	s_nop 0
	v_cndmask_b32_e64 v8, 0, -1, s[0:1]
	v_cmp_le_u32_e64 s[0:1], s10, v3
	v_cndmask_b32_e64 v7, 0, -1, vcc
	v_cmp_le_u32_e32 vcc, s10, v10
	v_cndmask_b32_e64 v3, 0, -1, s[0:1]
	v_cmp_eq_u32_e64 s[0:1], s11, v2
	s_nop 1
	v_cndmask_b32_e64 v11, v8, v3, s[0:1]
	v_lshl_add_u64 v[2:3], v[0:1], 0, 2
	v_lshl_add_u64 v[8:9], v[0:1], 0, 1
	v_cmp_ne_u32_e64 s[0:1], 0, v11
	s_nop 1
	v_cndmask_b32_e64 v3, v9, v3, s[0:1]
	v_cndmask_b32_e64 v9, 0, -1, vcc
	v_cmp_eq_u32_e32 vcc, s11, v5
	v_cndmask_b32_e64 v2, v8, v2, s[0:1]
	s_nop 0
	v_cndmask_b32_e32 v5, v7, v9, vcc
	v_cmp_ne_u32_e32 vcc, 0, v5
	s_nop 1
	v_cndmask_b32_e32 v1, v1, v3, vcc
	v_cndmask_b32_e32 v0, v0, v2, vcc
	v_xor_b32_e32 v3, s4, v4
	v_xor_b32_e32 v2, s5, v4
	;; [unrolled: 1-line block ×4, first 2 shown]
	v_sub_co_u32_e32 v4, vcc, v0, v3
	s_nop 1
	v_subb_co_u32_e32 v5, vcc, v1, v2, vcc
                                        ; implicit-def: $vgpr0_vgpr1
.LBB58_8:
	s_andn2_saveexec_b64 s[0:1], s[2:3]
	s_cbranch_execz .LBB58_10
; %bb.9:
	v_cvt_f32_u32_e32 v1, s9
	s_sub_i32 s2, 0, s9
	v_mov_b32_e32 v5, 0
	v_rcp_iflag_f32_e32 v1, v1
	s_nop 0
	v_mul_f32_e32 v1, 0x4f7ffffe, v1
	v_cvt_u32_f32_e32 v1, v1
	v_mul_lo_u32 v2, s2, v1
	v_mul_hi_u32 v2, v1, v2
	v_add_u32_e32 v1, v1, v2
	v_mul_hi_u32 v1, v0, v1
	v_mul_lo_u32 v2, v1, s9
	v_sub_u32_e32 v0, v0, v2
	v_add_u32_e32 v3, 1, v1
	v_subrev_u32_e32 v2, s9, v0
	v_cmp_le_u32_e32 vcc, s9, v0
	s_nop 1
	v_cndmask_b32_e32 v0, v0, v2, vcc
	v_cndmask_b32_e32 v1, v1, v3, vcc
	v_add_u32_e32 v2, 1, v1
	v_cmp_le_u32_e32 vcc, s9, v0
	s_nop 1
	v_cndmask_b32_e32 v4, v1, v2, vcc
.LBB58_10:
	s_or_b64 exec, exec, s[0:1]
	s_mul_i32 s0, s12, s8
	s_ashr_i32 s1, s0, 31
	s_add_u32 s0, s13, s0
	s_addc_u32 s1, s14, s1
	v_lshl_add_u64 v[0:1], s[0:1], 0, v[4:5]
	v_ashrrev_i32_e32 v2, 31, v1
	v_lshrrev_b32_e32 v2, 30, v2
	v_mov_b32_e32 v3, 0
	v_lshl_add_u64 v[0:1], v[0:1], 0, v[2:3]
	v_and_b32_e32 v0, -4, v0
	v_lshl_add_u64 v[0:1], s[6:7], 0, v[0:1]
	global_store_dword v[0:1], v6, off
.LBB58_11:
	s_endpgm
.LBB58_12:
                                        ; implicit-def: $sgpr16_sgpr17
	s_branch .LBB58_2
	.section	.rodata,"a",@progbits
	.p2align	6, 0x0
	.amdhsa_kernel _ZN4vllm32indexer_k_quant_and_cache_kernelIthLNS_18Fp8KVCacheDataTypeE1EEEvPKT_PT0_PKliiiib
		.amdhsa_group_segment_fixed_size 0
		.amdhsa_private_segment_fixed_size 0
		.amdhsa_kernarg_size 304
		.amdhsa_user_sgpr_count 2
		.amdhsa_user_sgpr_dispatch_ptr 0
		.amdhsa_user_sgpr_queue_ptr 0
		.amdhsa_user_sgpr_kernarg_segment_ptr 1
		.amdhsa_user_sgpr_dispatch_id 0
		.amdhsa_user_sgpr_kernarg_preload_length 0
		.amdhsa_user_sgpr_kernarg_preload_offset 0
		.amdhsa_user_sgpr_private_segment_size 0
		.amdhsa_uses_dynamic_stack 0
		.amdhsa_enable_private_segment 0
		.amdhsa_system_sgpr_workgroup_id_x 1
		.amdhsa_system_sgpr_workgroup_id_y 1
		.amdhsa_system_sgpr_workgroup_id_z 0
		.amdhsa_system_sgpr_workgroup_info 0
		.amdhsa_system_vgpr_workitem_id 1
		.amdhsa_next_free_vgpr 28
		.amdhsa_next_free_sgpr 25
		.amdhsa_accum_offset 28
		.amdhsa_reserve_vcc 1
		.amdhsa_float_round_mode_32 0
		.amdhsa_float_round_mode_16_64 0
		.amdhsa_float_denorm_mode_32 3
		.amdhsa_float_denorm_mode_16_64 3
		.amdhsa_dx10_clamp 1
		.amdhsa_ieee_mode 1
		.amdhsa_fp16_overflow 0
		.amdhsa_tg_split 0
		.amdhsa_exception_fp_ieee_invalid_op 0
		.amdhsa_exception_fp_denorm_src 0
		.amdhsa_exception_fp_ieee_div_zero 0
		.amdhsa_exception_fp_ieee_overflow 0
		.amdhsa_exception_fp_ieee_underflow 0
		.amdhsa_exception_fp_ieee_inexact 0
		.amdhsa_exception_int_div_zero 0
	.end_amdhsa_kernel
	.section	.text._ZN4vllm32indexer_k_quant_and_cache_kernelIthLNS_18Fp8KVCacheDataTypeE1EEEvPKT_PT0_PKliiiib,"axG",@progbits,_ZN4vllm32indexer_k_quant_and_cache_kernelIthLNS_18Fp8KVCacheDataTypeE1EEEvPKT_PT0_PKliiiib,comdat
.Lfunc_end58:
	.size	_ZN4vllm32indexer_k_quant_and_cache_kernelIthLNS_18Fp8KVCacheDataTypeE1EEEvPKT_PT0_PKliiiib, .Lfunc_end58-_ZN4vllm32indexer_k_quant_and_cache_kernelIthLNS_18Fp8KVCacheDataTypeE1EEEvPKT_PT0_PKliiiib
                                        ; -- End function
	.section	.AMDGPU.csdata,"",@progbits
; Kernel info:
; codeLenInByte = 2988
; NumSgprs: 31
; NumVgprs: 28
; NumAgprs: 0
; TotalNumVgprs: 28
; ScratchSize: 0
; MemoryBound: 0
; FloatMode: 240
; IeeeMode: 1
; LDSByteSize: 0 bytes/workgroup (compile time only)
; SGPRBlocks: 3
; VGPRBlocks: 3
; NumSGPRsForWavesPerEU: 31
; NumVGPRsForWavesPerEU: 28
; AccumOffset: 28
; Occupancy: 8
; WaveLimiterHint : 0
; COMPUTE_PGM_RSRC2:SCRATCH_EN: 0
; COMPUTE_PGM_RSRC2:USER_SGPR: 2
; COMPUTE_PGM_RSRC2:TRAP_HANDLER: 0
; COMPUTE_PGM_RSRC2:TGID_X_EN: 1
; COMPUTE_PGM_RSRC2:TGID_Y_EN: 1
; COMPUTE_PGM_RSRC2:TGID_Z_EN: 0
; COMPUTE_PGM_RSRC2:TIDIG_COMP_CNT: 1
; COMPUTE_PGM_RSRC3_GFX90A:ACCUM_OFFSET: 6
; COMPUTE_PGM_RSRC3_GFX90A:TG_SPLIT: 0
	.section	.text._ZN4vllm32indexer_k_quant_and_cache_kernelI14__hip_bfloat16hLNS_18Fp8KVCacheDataTypeE1EEEvPKT_PT0_PKliiiib,"axG",@progbits,_ZN4vllm32indexer_k_quant_and_cache_kernelI14__hip_bfloat16hLNS_18Fp8KVCacheDataTypeE1EEEvPKT_PT0_PKliiiib,comdat
	.protected	_ZN4vllm32indexer_k_quant_and_cache_kernelI14__hip_bfloat16hLNS_18Fp8KVCacheDataTypeE1EEEvPKT_PT0_PKliiiib ; -- Begin function _ZN4vllm32indexer_k_quant_and_cache_kernelI14__hip_bfloat16hLNS_18Fp8KVCacheDataTypeE1EEEvPKT_PT0_PKliiiib
	.globl	_ZN4vllm32indexer_k_quant_and_cache_kernelI14__hip_bfloat16hLNS_18Fp8KVCacheDataTypeE1EEEvPKT_PT0_PKliiiib
	.p2align	8
	.type	_ZN4vllm32indexer_k_quant_and_cache_kernelI14__hip_bfloat16hLNS_18Fp8KVCacheDataTypeE1EEEvPKT_PT0_PKliiiib,@function
_ZN4vllm32indexer_k_quant_and_cache_kernelI14__hip_bfloat16hLNS_18Fp8KVCacheDataTypeE1EEEvPKT_PT0_PKliiiib: ; @_ZN4vllm32indexer_k_quant_and_cache_kernelI14__hip_bfloat16hLNS_18Fp8KVCacheDataTypeE1EEEvPKT_PT0_PKliiiib
; %bb.0:
	s_load_dwordx2 s[6:7], s[0:1], 0x10
	s_load_dwordx4 s[8:11], s[0:1], 0x18
	s_mov_b32 s4, s3
	s_mov_b32 s3, 0
	s_lshl_b64 s[12:13], s[2:3], 3
	s_waitcnt lgkmcnt(0)
	s_add_u32 s6, s6, s12
	s_addc_u32 s7, s7, s13
	s_load_dwordx2 s[14:15], s[6:7], 0x0
	s_ashr_i32 s13, s10, 31
	s_mov_b32 s12, s10
	s_waitcnt lgkmcnt(0)
	s_or_b64 s[6:7], s[14:15], s[12:13]
	s_mov_b32 s6, s3
	s_cmp_lg_u64 s[6:7], 0
	s_cbranch_scc0 .LBB59_12
; %bb.1:
	s_add_u32 s16, s12, s13
	s_mov_b32 s6, s13
	s_mov_b32 s7, s13
	s_addc_u32 s17, s13, s13
	s_xor_b64 s[16:17], s[16:17], s[6:7]
	v_cvt_f32_u32_e32 v1, s16
	v_cvt_f32_u32_e32 v2, s17
	s_sub_u32 s3, 0, s16
	s_subb_u32 s5, 0, s17
	v_fmamk_f32 v1, v2, 0x4f800000, v1
	v_rcp_f32_e32 v1, v1
	s_nop 0
	v_mul_f32_e32 v1, 0x5f7ffffc, v1
	v_mul_f32_e32 v2, 0x2f800000, v1
	v_trunc_f32_e32 v2, v2
	v_fmamk_f32 v1, v2, 0xcf800000, v1
	v_cvt_u32_f32_e32 v2, v2
	v_cvt_u32_f32_e32 v1, v1
	v_readfirstlane_b32 s6, v2
	v_readfirstlane_b32 s7, v1
	s_mul_i32 s10, s3, s6
	s_mul_hi_u32 s20, s3, s7
	s_mul_i32 s13, s5, s7
	s_add_i32 s10, s20, s10
	s_add_i32 s10, s10, s13
	s_mul_i32 s21, s3, s7
	s_mul_hi_u32 s13, s7, s10
	s_mul_i32 s20, s7, s10
	s_mul_hi_u32 s7, s7, s21
	s_add_u32 s7, s7, s20
	s_addc_u32 s13, 0, s13
	s_mul_hi_u32 s22, s6, s21
	s_mul_i32 s21, s6, s21
	s_add_u32 s7, s7, s21
	s_mul_hi_u32 s20, s6, s10
	s_addc_u32 s7, s13, s22
	s_addc_u32 s13, s20, 0
	s_mul_i32 s10, s6, s10
	s_add_u32 s7, s7, s10
	s_addc_u32 s10, 0, s13
	v_add_co_u32_e32 v1, vcc, s7, v1
	s_cmp_lg_u64 vcc, 0
	s_addc_u32 s6, s6, s10
	v_readfirstlane_b32 s10, v1
	s_mul_i32 s7, s3, s6
	s_mul_hi_u32 s13, s3, s10
	s_add_i32 s7, s13, s7
	s_mul_i32 s5, s5, s10
	s_add_i32 s7, s7, s5
	s_mul_i32 s3, s3, s10
	s_mul_hi_u32 s13, s6, s3
	s_mul_i32 s20, s6, s3
	s_mul_i32 s22, s10, s7
	s_mul_hi_u32 s3, s10, s3
	s_mul_hi_u32 s21, s10, s7
	s_add_u32 s3, s3, s22
	s_addc_u32 s10, 0, s21
	s_add_u32 s3, s3, s20
	s_mul_hi_u32 s5, s6, s7
	s_addc_u32 s3, s10, s13
	s_addc_u32 s5, s5, 0
	s_mul_i32 s7, s6, s7
	s_add_u32 s3, s3, s7
	s_addc_u32 s5, 0, s5
	v_add_co_u32_e32 v1, vcc, s3, v1
	s_cmp_lg_u64 vcc, 0
	s_addc_u32 s3, s6, s5
	s_ashr_i32 s20, s15, 31
	s_add_u32 s6, s14, s20
	s_mov_b32 s21, s20
	s_addc_u32 s7, s15, s20
	s_xor_b64 s[22:23], s[6:7], s[20:21]
	v_readfirstlane_b32 s7, v1
	s_mul_i32 s6, s22, s3
	s_mul_hi_u32 s10, s22, s7
	s_mul_hi_u32 s5, s22, s3
	s_add_u32 s6, s10, s6
	s_addc_u32 s5, 0, s5
	s_mul_hi_u32 s13, s23, s7
	s_mul_i32 s7, s23, s7
	s_add_u32 s6, s6, s7
	s_mul_hi_u32 s10, s23, s3
	s_addc_u32 s5, s5, s13
	s_addc_u32 s6, s10, 0
	s_mul_i32 s3, s23, s3
	s_add_u32 s3, s5, s3
	s_addc_u32 s5, 0, s6
	s_mul_i32 s5, s16, s5
	s_mul_hi_u32 s6, s16, s3
	s_add_i32 s5, s6, s5
	s_mul_i32 s6, s17, s3
	s_mul_i32 s3, s16, s3
	s_add_i32 s5, s5, s6
	v_mov_b32_e32 v1, s3
	s_sub_i32 s6, s23, s5
	v_sub_co_u32_e32 v1, vcc, s22, v1
	s_cmp_lg_u64 vcc, 0
	s_subb_u32 s3, s6, s17
	v_subrev_co_u32_e64 v2, s[6:7], s16, v1
	s_cmp_lg_u64 s[6:7], 0
	s_subb_u32 s10, s3, 0
	s_cmp_ge_u32 s10, s17
	v_readfirstlane_b32 s22, v2
	s_cselect_b32 s13, -1, 0
	s_cmp_ge_u32 s22, s16
	s_cselect_b32 s24, -1, 0
	s_cmp_eq_u32 s10, s17
	s_cselect_b32 s13, s24, s13
	s_cmp_lg_u64 s[6:7], 0
	s_subb_u32 s3, s3, s17
	v_subrev_co_u32_e64 v2, s[6:7], s16, v2
	s_cmp_lg_u64 s[6:7], 0
	s_subb_u32 s3, s3, 0
	s_cmp_lg_u32 s13, 0
	v_readfirstlane_b32 s6, v2
	s_cselect_b32 s6, s6, s22
	s_cselect_b32 s3, s3, s10
	s_cmp_lg_u64 vcc, 0
	s_subb_u32 s5, s23, s5
	s_cmp_ge_u32 s5, s17
	v_readfirstlane_b32 s10, v1
	s_cselect_b32 s7, -1, 0
	s_cmp_ge_u32 s10, s16
	s_cselect_b32 s13, -1, 0
	s_cmp_eq_u32 s5, s17
	s_cselect_b32 s7, s13, s7
	s_cmp_lg_u32 s7, 0
	s_cselect_b32 s7, s3, s5
	s_cselect_b32 s6, s6, s10
	s_xor_b64 s[6:7], s[6:7], s[20:21]
	s_sub_u32 s16, s6, s20
	s_subb_u32 s17, s7, s20
	s_cbranch_execnz .LBB59_3
.LBB59_2:
	v_cvt_f32_u32_e32 v1, s12
	s_sub_i32 s3, 0, s12
	s_mov_b32 s17, 0
	v_rcp_iflag_f32_e32 v1, v1
	s_nop 0
	v_mul_f32_e32 v1, 0x4f7ffffe, v1
	v_cvt_u32_f32_e32 v1, v1
	s_nop 0
	v_readfirstlane_b32 s5, v1
	s_mul_i32 s3, s3, s5
	s_mul_hi_u32 s3, s5, s3
	s_add_i32 s5, s5, s3
	s_mul_hi_u32 s3, s14, s5
	s_mul_i32 s3, s3, s12
	s_sub_i32 s3, s14, s3
	s_sub_i32 s5, s3, s12
	s_cmp_ge_u32 s3, s12
	s_cselect_b32 s3, s5, s3
	s_sub_i32 s5, s3, s12
	s_cmp_ge_u32 s3, s12
	s_cselect_b32 s16, s5, s3
.LBB59_3:
	v_cmp_lt_i64_e64 s[6:7], s[14:15], 0
	s_and_b64 vcc, exec, s[6:7]
	s_cbranch_vccnz .LBB59_11
; %bb.4:
	s_load_dword s5, s[0:1], 0x3c
	s_load_dword s3, s[0:1], 0x28
	v_bfe_u32 v1, v0, 10, 10
	v_and_b32_e32 v2, 0x3ff, v0
	s_ashr_i32 s19, s8, 31
	s_waitcnt lgkmcnt(0)
	s_lshr_b32 s6, s5, 16
	s_mul_i32 s4, s4, s6
	s_and_b32 s5, s5, 0xffff
	v_add_u32_e32 v0, s4, v1
	v_mul_lo_u32 v0, v0, s5
	v_add_lshl_u32 v0, v0, v2, 2
	v_mov_b32_e32 v1, 0
	s_mov_b32 s18, s8
	v_cmp_gt_i64_e32 vcc, s[18:19], v[0:1]
	s_and_saveexec_b64 s[4:5], vcc
	s_cbranch_execz .LBB59_11
; %bb.5:
	v_mov_b32_e32 v3, s2
	s_load_dwordx4 s[4:7], s[0:1], 0x0
	v_mad_u64_u32 v[4:5], s[0:1], s18, v3, v[0:1]
	s_mul_i32 s0, s19, s2
	s_nop 0
	v_add_u32_e32 v5, s0, v5
	v_lshlrev_b64 v[4:5], 1, v[4:5]
	v_and_b32_e32 v4, -8, v4
	s_waitcnt lgkmcnt(0)
	v_lshl_add_u64 v[4:5], s[4:5], 0, v[4:5]
	global_load_dwordx2 v[4:5], v[4:5], off
	v_mbcnt_lo_u32_b32 v3, -1, 0
	v_mbcnt_hi_u32_b32 v3, -1, v3
	v_and_b32_e32 v10, 64, v3
	v_xor_b32_e32 v11, 16, v3
	v_add_u32_e32 v10, 64, v10
	v_cmp_lt_i32_e32 vcc, v11, v10
	s_mov_b32 s0, 0x38d1b717
	s_mov_b32 s2, 0x43600000
	v_cndmask_b32_e32 v11, v3, v11, vcc
	v_lshlrev_b32_e32 v11, 2, v11
	s_bitcmp1_b32 s3, 0
	s_mov_b32 s3, 0x800000
	v_mov_b32_e32 v6, 0x4f800000
	v_mov_b32_e32 v7, 0x42000000
	s_mov_b32 s5, 0xc2fc0000
	v_mov_b32_e32 v8, 0x42800000
	v_mov_b32_e32 v9, 0x1f800000
	s_mul_i32 s10, s16, s19
	s_mul_hi_u32 s19, s16, s18
	s_mul_i32 s20, s17, s18
	s_mul_i32 s4, s16, s18
	s_mov_b32 s18, 0x7f800000
	s_mov_b32 s21, 0x43700000
	s_waitcnt vmcnt(0)
	v_and_b32_e32 v12, 0xffff0000, v4
	v_lshlrev_b32_e32 v13, 16, v4
	v_alignbit_b32 v4, v5, v4, 16
	v_and_b32_e32 v14, 0xffff0000, v5
	v_max3_f32 v5, |v13|, 0, |v12|
	v_and_b32_e32 v15, 0xffff0000, v4
	v_max3_f32 v4, v5, |v15|, |v14|
	ds_bpermute_b32 v5, v11, v4
	v_xor_b32_e32 v11, 8, v3
	v_cmp_lt_i32_e32 vcc, v11, v10
	s_waitcnt lgkmcnt(0)
	v_max_f32_e32 v5, v5, v5
	v_cndmask_b32_e32 v11, v3, v11, vcc
	v_lshlrev_b32_e32 v11, 2, v11
	v_max_f32_e32 v4, v4, v5
	ds_bpermute_b32 v5, v11, v4
	v_xor_b32_e32 v11, 4, v3
	v_cmp_lt_i32_e32 vcc, v11, v10
	s_waitcnt lgkmcnt(0)
	v_max_f32_e32 v5, v5, v5
	v_cndmask_b32_e32 v11, v3, v11, vcc
	v_lshlrev_b32_e32 v11, 2, v11
	v_max_f32_e32 v4, v4, v5
	;; [unrolled: 8-line block ×4, first 2 shown]
	ds_bpermute_b32 v3, v3, v4
	s_waitcnt lgkmcnt(0)
	v_max3_f32 v3, v4, v3, s0
	v_div_scale_f32 v4, s[0:1], s2, s2, v3
	v_rcp_f32_e32 v5, v4
	v_div_scale_f32 v10, vcc, v3, s2, v3
	v_fma_f32 v11, -v4, v5, 1.0
	v_fmac_f32_e32 v5, v11, v5
	v_mul_f32_e32 v11, v10, v5
	v_fma_f32 v16, -v4, v11, v10
	v_fmac_f32_e32 v11, v16, v5
	v_fma_f32 v4, -v4, v11, v10
	v_div_fmas_f32 v4, v4, v5, v11
	v_div_fixup_f32 v3, v4, s2, v3
	v_cmp_gt_f32_e32 vcc, s3, v3
	v_mov_b32_e32 v10, 0xc3700000
	s_nop 0
	v_cndmask_b32_e32 v4, 1.0, v6, vcc
	v_mul_f32_e32 v4, v3, v4
	v_log_f32_e32 v4, v4
	v_cndmask_b32_e32 v5, 0, v7, vcc
	v_mov_b32_e32 v7, v1
	v_sub_f32_e32 v4, v4, v5
	v_ceil_f32_e32 v4, v4
	v_cmp_gt_f32_e32 vcc, s5, v4
	s_nop 1
	v_cndmask_b32_e32 v5, 0, v8, vcc
	v_add_f32_e32 v4, v4, v5
	v_exp_f32_e32 v4, v4
	v_cndmask_b32_e32 v5, 1.0, v9, vcc
	s_cselect_b64 vcc, -1, 0
	s_sub_u32 s0, s14, s16
	v_mul_f32_e32 v4, v4, v5
	v_cndmask_b32_e32 v6, v3, v4, vcc
	s_subb_u32 s1, s15, s17
	s_ashr_i32 s2, s11, 31
	s_mul_hi_u32 s14, s0, s11
	s_mul_i32 s13, s0, s11
	s_add_i32 s3, s19, s10
	s_mul_i32 s10, s0, s2
	s_mul_i32 s11, s1, s11
	v_div_scale_f32 v3, s[0:1], v6, v6, v13
	s_add_i32 s5, s3, s20
	v_div_scale_f32 v11, s[0:1], v6, v6, v12
	v_div_scale_f32 v17, s[2:3], v6, v6, v15
	v_rcp_f32_e32 v19, v3
	v_rcp_f32_e32 v20, v11
	;; [unrolled: 1-line block ×3, first 2 shown]
	v_div_scale_f32 v9, vcc, v13, v6, v13
	v_fma_f32 v4, -v3, v19, 1.0
	v_fma_f32 v5, -v11, v20, 1.0
	;; [unrolled: 1-line block ×3, first 2 shown]
	v_fmac_f32_e32 v19, v4, v19
	v_div_scale_f32 v16, s[0:1], v12, v6, v12
	v_fmac_f32_e32 v20, v5, v20
	v_fmac_f32_e32 v21, v22, v21
	v_mul_f32_e32 v22, v9, v19
	v_div_scale_f32 v18, s[2:3], v15, v6, v15
	v_mul_f32_e32 v23, v16, v20
	v_fma_f32 v25, -v3, v22, v9
	v_mul_f32_e32 v24, v18, v21
	v_fma_f32 v26, -v11, v23, v16
	v_fmac_f32_e32 v22, v25, v19
	v_fma_f32 v27, -v17, v24, v18
	v_fmac_f32_e32 v23, v26, v20
	;; [unrolled: 2-line block ×3, first 2 shown]
	v_fma_f32 v9, -v11, v23, v16
	v_div_fmas_f32 v3, v3, v19, v22
	s_mov_b64 vcc, s[0:1]
	v_fma_f32 v11, -v17, v24, v18
	v_div_fixup_f32 v3, v3, v6, v13
	v_div_fmas_f32 v9, v9, v20, v23
	s_mov_b64 vcc, s[2:3]
	v_med3_f32 v13, v3, s21, v10
	v_div_fixup_f32 v9, v9, v6, v12
	v_div_fmas_f32 v11, v11, v21, v24
	v_cmp_nlg_f32_e64 vcc, |v3|, s18
	v_med3_f32 v12, v9, s21, v10
	v_mov_b32_e32 v8, v1
	v_cndmask_b32_e32 v3, v13, v3, vcc
	v_cmp_nlg_f32_e64 vcc, |v9|, s18
	v_cvt_pk_fp8_f32 v7, v3, v3
	v_div_fixup_f32 v11, v11, v6, v15
	v_cndmask_b32_e32 v3, v12, v9, vcc
	v_cvt_pk_fp8_f32 v8, v3, v3
	v_div_scale_f32 v3, s[0:1], v6, v6, v14
	v_rcp_f32_e32 v12, v3
	v_med3_f32 v9, v11, s21, v10
	v_cmp_nlg_f32_e64 vcc, |v11|, s18
	s_add_i32 s10, s14, s10
	v_fma_f32 v13, -v3, v12, 1.0
	v_cndmask_b32_e32 v9, v9, v11, vcc
	v_fmac_f32_e32 v12, v13, v12
	v_div_scale_f32 v13, vcc, v14, v6, v14
	v_mul_f32_e32 v15, v13, v12
	v_fma_f32 v16, -v3, v15, v13
	v_fmac_f32_e32 v15, v16, v12
	v_fma_f32 v3, -v3, v15, v13
	v_div_fmas_f32 v3, v3, v12, v15
	v_div_fixup_f32 v3, v3, v6, v14
	v_med3_f32 v10, v3, s21, v10
	v_cmp_nlg_f32_e64 vcc, |v3|, s18
	v_mov_b32_e32 v11, v1
	s_add_i32 s14, s10, s11
	v_cndmask_b32_e32 v3, v10, v3, vcc
	v_mov_b32_e32 v10, v1
	v_cvt_pk_fp8_f32 v10, v3, v3
	v_cvt_pk_fp8_f32 v11, v9, v9
	s_add_u32 s10, s6, s13
	s_addc_u32 s11, s7, s14
	v_lshlrev_b16_e32 v3, 8, v8
	s_add_u32 s10, s10, s4
	v_or_b32_sdwa v3, v7, v3 dst_sel:DWORD dst_unused:UNUSED_PAD src0_sel:BYTE_0 src1_sel:DWORD
	v_lshlrev_b16_e32 v7, 8, v10
	s_addc_u32 s11, s11, s5
	v_or_b32_sdwa v7, v11, v7 dst_sel:WORD_1 dst_unused:UNUSED_PAD src0_sel:BYTE_0 src1_sel:DWORD
	v_lshl_add_u64 v[4:5], s[10:11], 0, v[0:1]
	v_or_b32_sdwa v3, v3, v7 dst_sel:DWORD dst_unused:UNUSED_PAD src0_sel:WORD_0 src1_sel:DWORD
	v_cmp_eq_u32_e32 vcc, 0, v2
	global_store_dword v[4:5], v3, off
	s_and_b64 exec, exec, vcc
	s_cbranch_execz .LBB59_11
; %bb.6:
	v_lshl_add_u64 v[0:1], s[4:5], 0, v[0:1]
	v_lshlrev_b64 v[0:1], 2, v[0:1]
	s_ashr_i32 s0, s9, 31
	v_or_b32_e32 v3, s0, v1
	v_mov_b32_e32 v2, 0
	v_cmp_ne_u64_e32 vcc, 0, v[2:3]
                                        ; implicit-def: $vgpr4_vgpr5
	s_and_saveexec_b64 s[2:3], vcc
	s_xor_b64 s[2:3], exec, s[2:3]
	s_cbranch_execz .LBB59_8
; %bb.7:
	s_add_u32 s10, s9, s0
	s_mov_b32 s4, s0
	s_mov_b32 s5, s0
	s_addc_u32 s11, s0, s0
	s_xor_b64 s[10:11], s[10:11], s[4:5]
	v_cvt_f32_u32_e32 v3, s10
	v_cvt_f32_u32_e32 v4, s11
	s_sub_u32 s0, 0, s10
	s_subb_u32 s1, 0, s11
	v_mov_b32_e32 v9, v2
	v_fmamk_f32 v3, v4, 0x4f800000, v3
	v_rcp_f32_e32 v3, v3
	s_nop 0
	v_mul_f32_e32 v3, 0x5f7ffffc, v3
	v_mul_f32_e32 v4, 0x2f800000, v3
	v_trunc_f32_e32 v4, v4
	v_fmamk_f32 v3, v4, 0xcf800000, v3
	v_cvt_u32_f32_e32 v7, v4
	v_cvt_u32_f32_e32 v3, v3
	v_mul_lo_u32 v4, s0, v7
	v_mul_hi_u32 v8, s0, v3
	v_mul_lo_u32 v5, s1, v3
	v_add_u32_e32 v4, v8, v4
	v_mul_lo_u32 v10, s0, v3
	v_add_u32_e32 v11, v4, v5
	v_mul_hi_u32 v5, v3, v11
	v_mul_lo_u32 v4, v3, v11
	v_mul_hi_u32 v8, v3, v10
	v_lshl_add_u64 v[4:5], v[8:9], 0, v[4:5]
	v_mul_hi_u32 v9, v7, v10
	v_mul_lo_u32 v10, v7, v10
	v_add_co_u32_e32 v4, vcc, v4, v10
	v_mul_hi_u32 v8, v7, v11
	s_nop 0
	v_addc_co_u32_e32 v4, vcc, v5, v9, vcc
	v_mov_b32_e32 v5, v2
	s_nop 0
	v_addc_co_u32_e32 v9, vcc, 0, v8, vcc
	v_mul_lo_u32 v8, v7, v11
	v_lshl_add_u64 v[4:5], v[4:5], 0, v[8:9]
	v_add_co_u32_e32 v3, vcc, v3, v4
	v_mul_lo_u32 v8, s0, v3
	s_nop 0
	v_addc_co_u32_e32 v7, vcc, v7, v5, vcc
	v_mul_lo_u32 v4, s0, v7
	v_mul_hi_u32 v5, s0, v3
	v_add_u32_e32 v4, v5, v4
	v_mul_lo_u32 v5, s1, v3
	v_add_u32_e32 v10, v4, v5
	v_mul_hi_u32 v12, v7, v8
	v_mul_lo_u32 v13, v7, v8
	v_mul_hi_u32 v5, v3, v10
	v_mul_lo_u32 v4, v3, v10
	v_mul_hi_u32 v8, v3, v8
	v_mov_b32_e32 v9, v2
	v_lshl_add_u64 v[4:5], v[8:9], 0, v[4:5]
	v_add_co_u32_e32 v4, vcc, v4, v13
	v_mul_hi_u32 v11, v7, v10
	s_nop 0
	v_addc_co_u32_e32 v4, vcc, v5, v12, vcc
	v_mul_lo_u32 v8, v7, v10
	s_nop 0
	v_addc_co_u32_e32 v9, vcc, 0, v11, vcc
	v_mov_b32_e32 v5, v2
	v_lshl_add_u64 v[4:5], v[4:5], 0, v[8:9]
	v_add_co_u32_e32 v3, vcc, v3, v4
	v_ashrrev_i32_e32 v4, 31, v1
	s_nop 0
	v_addc_co_u32_e32 v7, vcc, v7, v5, vcc
	v_mov_b32_e32 v5, v4
	v_lshl_add_u64 v[0:1], v[0:1], 0, v[4:5]
	v_xor_b32_e32 v12, v0, v4
	v_xor_b32_e32 v5, v1, v4
	v_mad_u64_u32 v[0:1], s[0:1], v12, v7, 0
	v_mul_hi_u32 v8, v12, v3
	v_mov_b32_e32 v9, v2
	v_lshl_add_u64 v[0:1], v[8:9], 0, v[0:1]
	v_mad_u64_u32 v[10:11], s[0:1], v5, v3, 0
	v_add_co_u32_e32 v0, vcc, v0, v10
	v_mad_u64_u32 v[8:9], s[0:1], v5, v7, 0
	s_nop 0
	v_addc_co_u32_e32 v0, vcc, v1, v11, vcc
	v_mov_b32_e32 v1, v2
	s_nop 0
	v_addc_co_u32_e32 v9, vcc, 0, v9, vcc
	v_lshl_add_u64 v[0:1], v[0:1], 0, v[8:9]
	v_mul_lo_u32 v7, s11, v0
	v_mul_lo_u32 v8, s10, v1
	v_mad_u64_u32 v[2:3], s[0:1], s10, v0, 0
	v_add3_u32 v7, v3, v8, v7
	v_sub_u32_e32 v3, v5, v7
	v_mov_b32_e32 v8, s11
	v_sub_co_u32_e32 v10, vcc, v12, v2
	s_nop 1
	v_subb_co_u32_e64 v2, s[0:1], v3, v8, vcc
	v_subrev_co_u32_e64 v3, s[0:1], s10, v10
	v_subb_co_u32_e32 v5, vcc, v5, v7, vcc
	s_nop 0
	v_subbrev_co_u32_e64 v2, s[0:1], 0, v2, s[0:1]
	v_cmp_le_u32_e64 s[0:1], s11, v2
	v_cmp_le_u32_e32 vcc, s11, v5
	s_nop 0
	v_cndmask_b32_e64 v8, 0, -1, s[0:1]
	v_cmp_le_u32_e64 s[0:1], s10, v3
	v_cndmask_b32_e64 v7, 0, -1, vcc
	v_cmp_le_u32_e32 vcc, s10, v10
	v_cndmask_b32_e64 v3, 0, -1, s[0:1]
	v_cmp_eq_u32_e64 s[0:1], s11, v2
	s_nop 1
	v_cndmask_b32_e64 v11, v8, v3, s[0:1]
	v_lshl_add_u64 v[2:3], v[0:1], 0, 2
	v_lshl_add_u64 v[8:9], v[0:1], 0, 1
	v_cmp_ne_u32_e64 s[0:1], 0, v11
	s_nop 1
	v_cndmask_b32_e64 v3, v9, v3, s[0:1]
	v_cndmask_b32_e64 v9, 0, -1, vcc
	v_cmp_eq_u32_e32 vcc, s11, v5
	v_cndmask_b32_e64 v2, v8, v2, s[0:1]
	s_nop 0
	v_cndmask_b32_e32 v5, v7, v9, vcc
	v_cmp_ne_u32_e32 vcc, 0, v5
	s_nop 1
	v_cndmask_b32_e32 v1, v1, v3, vcc
	v_cndmask_b32_e32 v0, v0, v2, vcc
	v_xor_b32_e32 v3, s4, v4
	v_xor_b32_e32 v2, s5, v4
	;; [unrolled: 1-line block ×4, first 2 shown]
	v_sub_co_u32_e32 v4, vcc, v0, v3
	s_nop 1
	v_subb_co_u32_e32 v5, vcc, v1, v2, vcc
                                        ; implicit-def: $vgpr0_vgpr1
.LBB59_8:
	s_andn2_saveexec_b64 s[0:1], s[2:3]
	s_cbranch_execz .LBB59_10
; %bb.9:
	v_cvt_f32_u32_e32 v1, s9
	s_sub_i32 s2, 0, s9
	v_mov_b32_e32 v5, 0
	v_rcp_iflag_f32_e32 v1, v1
	s_nop 0
	v_mul_f32_e32 v1, 0x4f7ffffe, v1
	v_cvt_u32_f32_e32 v1, v1
	v_mul_lo_u32 v2, s2, v1
	v_mul_hi_u32 v2, v1, v2
	v_add_u32_e32 v1, v1, v2
	v_mul_hi_u32 v1, v0, v1
	v_mul_lo_u32 v2, v1, s9
	v_sub_u32_e32 v0, v0, v2
	v_add_u32_e32 v3, 1, v1
	v_subrev_u32_e32 v2, s9, v0
	v_cmp_le_u32_e32 vcc, s9, v0
	s_nop 1
	v_cndmask_b32_e32 v0, v0, v2, vcc
	v_cndmask_b32_e32 v1, v1, v3, vcc
	v_add_u32_e32 v2, 1, v1
	v_cmp_le_u32_e32 vcc, s9, v0
	s_nop 1
	v_cndmask_b32_e32 v4, v1, v2, vcc
.LBB59_10:
	s_or_b64 exec, exec, s[0:1]
	s_mul_i32 s0, s12, s8
	s_ashr_i32 s1, s0, 31
	s_add_u32 s0, s13, s0
	s_addc_u32 s1, s14, s1
	v_lshl_add_u64 v[0:1], s[0:1], 0, v[4:5]
	v_ashrrev_i32_e32 v2, 31, v1
	v_lshrrev_b32_e32 v2, 30, v2
	v_mov_b32_e32 v3, 0
	v_lshl_add_u64 v[0:1], v[0:1], 0, v[2:3]
	v_and_b32_e32 v0, -4, v0
	v_lshl_add_u64 v[0:1], s[6:7], 0, v[0:1]
	global_store_dword v[0:1], v6, off
.LBB59_11:
	s_endpgm
.LBB59_12:
                                        ; implicit-def: $sgpr16_sgpr17
	s_branch .LBB59_2
	.section	.rodata,"a",@progbits
	.p2align	6, 0x0
	.amdhsa_kernel _ZN4vllm32indexer_k_quant_and_cache_kernelI14__hip_bfloat16hLNS_18Fp8KVCacheDataTypeE1EEEvPKT_PT0_PKliiiib
		.amdhsa_group_segment_fixed_size 0
		.amdhsa_private_segment_fixed_size 0
		.amdhsa_kernarg_size 304
		.amdhsa_user_sgpr_count 2
		.amdhsa_user_sgpr_dispatch_ptr 0
		.amdhsa_user_sgpr_queue_ptr 0
		.amdhsa_user_sgpr_kernarg_segment_ptr 1
		.amdhsa_user_sgpr_dispatch_id 0
		.amdhsa_user_sgpr_kernarg_preload_length 0
		.amdhsa_user_sgpr_kernarg_preload_offset 0
		.amdhsa_user_sgpr_private_segment_size 0
		.amdhsa_uses_dynamic_stack 0
		.amdhsa_enable_private_segment 0
		.amdhsa_system_sgpr_workgroup_id_x 1
		.amdhsa_system_sgpr_workgroup_id_y 1
		.amdhsa_system_sgpr_workgroup_id_z 0
		.amdhsa_system_sgpr_workgroup_info 0
		.amdhsa_system_vgpr_workitem_id 1
		.amdhsa_next_free_vgpr 28
		.amdhsa_next_free_sgpr 25
		.amdhsa_accum_offset 28
		.amdhsa_reserve_vcc 1
		.amdhsa_float_round_mode_32 0
		.amdhsa_float_round_mode_16_64 0
		.amdhsa_float_denorm_mode_32 3
		.amdhsa_float_denorm_mode_16_64 3
		.amdhsa_dx10_clamp 1
		.amdhsa_ieee_mode 1
		.amdhsa_fp16_overflow 0
		.amdhsa_tg_split 0
		.amdhsa_exception_fp_ieee_invalid_op 0
		.amdhsa_exception_fp_denorm_src 0
		.amdhsa_exception_fp_ieee_div_zero 0
		.amdhsa_exception_fp_ieee_overflow 0
		.amdhsa_exception_fp_ieee_underflow 0
		.amdhsa_exception_fp_ieee_inexact 0
		.amdhsa_exception_int_div_zero 0
	.end_amdhsa_kernel
	.section	.text._ZN4vllm32indexer_k_quant_and_cache_kernelI14__hip_bfloat16hLNS_18Fp8KVCacheDataTypeE1EEEvPKT_PT0_PKliiiib,"axG",@progbits,_ZN4vllm32indexer_k_quant_and_cache_kernelI14__hip_bfloat16hLNS_18Fp8KVCacheDataTypeE1EEEvPKT_PT0_PKliiiib,comdat
.Lfunc_end59:
	.size	_ZN4vllm32indexer_k_quant_and_cache_kernelI14__hip_bfloat16hLNS_18Fp8KVCacheDataTypeE1EEEvPKT_PT0_PKliiiib, .Lfunc_end59-_ZN4vllm32indexer_k_quant_and_cache_kernelI14__hip_bfloat16hLNS_18Fp8KVCacheDataTypeE1EEEvPKT_PT0_PKliiiib
                                        ; -- End function
	.section	.AMDGPU.csdata,"",@progbits
; Kernel info:
; codeLenInByte = 2940
; NumSgprs: 31
; NumVgprs: 28
; NumAgprs: 0
; TotalNumVgprs: 28
; ScratchSize: 0
; MemoryBound: 0
; FloatMode: 240
; IeeeMode: 1
; LDSByteSize: 0 bytes/workgroup (compile time only)
; SGPRBlocks: 3
; VGPRBlocks: 3
; NumSGPRsForWavesPerEU: 31
; NumVGPRsForWavesPerEU: 28
; AccumOffset: 28
; Occupancy: 8
; WaveLimiterHint : 0
; COMPUTE_PGM_RSRC2:SCRATCH_EN: 0
; COMPUTE_PGM_RSRC2:USER_SGPR: 2
; COMPUTE_PGM_RSRC2:TRAP_HANDLER: 0
; COMPUTE_PGM_RSRC2:TGID_X_EN: 1
; COMPUTE_PGM_RSRC2:TGID_Y_EN: 1
; COMPUTE_PGM_RSRC2:TGID_Z_EN: 0
; COMPUTE_PGM_RSRC2:TIDIG_COMP_CNT: 1
; COMPUTE_PGM_RSRC3_GFX90A:ACCUM_OFFSET: 6
; COMPUTE_PGM_RSRC3_GFX90A:TG_SPLIT: 0
	.section	.text._ZN4vllm38cp_gather_indexer_k_quant_cache_kernelILi1EEEvPKcPcS3_PKiS5_illllliii,"axG",@progbits,_ZN4vllm38cp_gather_indexer_k_quant_cache_kernelILi1EEEvPKcPcS3_PKiS5_illllliii,comdat
	.protected	_ZN4vllm38cp_gather_indexer_k_quant_cache_kernelILi1EEEvPKcPcS3_PKiS5_illllliii ; -- Begin function _ZN4vllm38cp_gather_indexer_k_quant_cache_kernelILi1EEEvPKcPcS3_PKiS5_illllliii
	.globl	_ZN4vllm38cp_gather_indexer_k_quant_cache_kernelILi1EEEvPKcPcS3_PKiS5_illllliii
	.p2align	8
	.type	_ZN4vllm38cp_gather_indexer_k_quant_cache_kernelILi1EEEvPKcPcS3_PKiS5_illllliii,@function
_ZN4vllm38cp_gather_indexer_k_quant_cache_kernelILi1EEEvPKcPcS3_PKiS5_illllliii: ; @_ZN4vllm38cp_gather_indexer_k_quant_cache_kernelILi1EEEvPKcPcS3_PKiS5_illllliii
; %bb.0:
	s_load_dwordx2 s[6:7], s[0:1], 0x20
	s_load_dword s10, s[0:1], 0x74
	v_bfe_u32 v1, v0, 10, 10
	v_and_b32_e32 v5, 0x3ff, v0
	v_cmp_eq_u32_e64 s[4:5], 0, v5
	v_lshlrev_b32_e32 v4, 2, v1
	s_and_saveexec_b64 s[8:9], s[4:5]
	s_cbranch_execz .LBB60_2
; %bb.1:
	v_mov_b32_e32 v0, -1
	ds_write_b32 v4, v0
.LBB60_2:
	s_or_b64 exec, exec, s[8:9]
	s_waitcnt lgkmcnt(0)
	s_lshr_b32 s8, s10, 16
	s_and_b32 s10, s10, 0xffff
	v_cvt_f32_u32_e32 v0, s10
	s_load_dword s11, s[0:1], 0x28
	s_mul_i32 s2, s2, s8
	s_sub_i32 s9, 0, s10
	v_rcp_iflag_f32_e32 v0, v0
	v_add_u32_e32 v8, s2, v1
	s_waitcnt lgkmcnt(0)
	s_add_i32 s2, s11, s10
	s_add_i32 s2, s2, -1
	v_mul_f32_e32 v0, 0x4f7ffffe, v0
	v_cvt_u32_f32_e32 v0, v0
	s_ashr_i32 s8, s2, 31
	s_abs_i32 s2, s2
	v_readfirstlane_b32 s12, v0
	s_mul_i32 s9, s9, s12
	s_mul_hi_u32 s9, s12, s9
	s_add_i32 s12, s12, s9
	s_mul_hi_u32 s9, s2, s12
	s_mul_i32 s12, s9, s10
	s_sub_i32 s2, s2, s12
	s_add_i32 s12, s9, 1
	s_sub_i32 s13, s2, s10
	s_cmp_ge_u32 s2, s10
	s_cselect_b32 s9, s12, s9
	s_cselect_b32 s2, s13, s2
	s_add_i32 s12, s9, 1
	s_cmp_ge_u32 s2, s10
	s_cselect_b32 s2, s12, s9
	s_xor_b32 s2, s2, s8
	s_sub_i32 s2, s2, s8
	s_cmp_lt_i32 s2, 1
	s_barrier
	s_cbranch_scc1 .LBB60_9
; %bb.3:
	v_mov_b32_e32 v0, v5
	s_branch .LBB60_5
.LBB60_4:                               ;   in Loop: Header=BB60_5 Depth=1
	s_or_b64 exec, exec, s[8:9]
	s_add_i32 s2, s2, -1
	s_cmp_eq_u32 s2, 0
	v_add_u32_e32 v0, s10, v0
	s_cbranch_scc1 .LBB60_9
.LBB60_5:                               ; =>This Inner Loop Header: Depth=1
	v_cmp_gt_i32_e32 vcc, s11, v0
	s_and_saveexec_b64 s[8:9], vcc
	s_cbranch_execz .LBB60_4
; %bb.6:                                ;   in Loop: Header=BB60_5 Depth=1
	v_ashrrev_i32_e32 v1, 31, v0
	v_lshl_add_u64 v[2:3], v[0:1], 2, s[6:7]
	global_load_dword v1, v[2:3], off
	s_waitcnt vmcnt(0)
	v_cmp_ge_i32_e32 vcc, v8, v1
	s_and_b64 exec, exec, vcc
	s_cbranch_execz .LBB60_4
; %bb.7:                                ;   in Loop: Header=BB60_5 Depth=1
	global_load_dword v1, v[2:3], off offset:4
	s_waitcnt vmcnt(0)
	v_cmp_lt_i32_e32 vcc, v8, v1
	s_and_b64 exec, exec, vcc
	s_cbranch_execz .LBB60_4
; %bb.8:                                ;   in Loop: Header=BB60_5 Depth=1
	ds_write_b32 v4, v0
	s_branch .LBB60_4
.LBB60_9:
	s_load_dwordx4 s[12:15], s[0:1], 0x30
	s_mul_i32 s3, s3, s10
	v_add_lshl_u32 v0, s3, v5, 4
	v_ashrrev_i32_e32 v1, 31, v0
	s_waitcnt lgkmcnt(0)
	v_cmp_gt_i64_e32 vcc, s[14:15], v[0:1]
	s_barrier
	s_and_saveexec_b64 s[2:3], vcc
	s_cbranch_execz .LBB60_25
; %bb.10:
	s_load_dwordx4 s[8:11], s[0:1], 0x58
	ds_read_b32 v2, v4
	s_waitcnt lgkmcnt(0)
	v_cmp_gt_i32_e32 vcc, s9, v8
	v_cmp_lt_i32_e64 s[2:3], -1, v2
	s_and_b64 s[2:3], vcc, s[2:3]
	s_and_b64 exec, exec, s[2:3]
	s_cbranch_execz .LBB60_25
; %bb.11:
	v_mov_b32_e32 v3, 0
	v_lshl_add_u64 v[4:5], v[2:3], 2, s[6:7]
	global_load_dword v4, v[4:5], off
	s_load_dwordx2 s[6:7], s[0:1], 0x50
	s_load_dwordx2 s[22:23], s[0:1], 0x18
	;; [unrolled: 1-line block ×3, first 2 shown]
	v_mov_b32_e32 v6, v3
	s_waitcnt vmcnt(0)
	v_sub_u32_e32 v4, v8, v4
	v_ashrrev_i32_e32 v5, 31, v4
	s_waitcnt lgkmcnt(0)
	v_or_b32_e32 v7, s7, v5
	v_cmp_ne_u64_e32 vcc, 0, v[6:7]
                                        ; implicit-def: $vgpr6_vgpr7
	s_and_saveexec_b64 s[2:3], vcc
	s_xor_b64 s[16:17], exec, s[2:3]
	s_cbranch_execz .LBB60_13
; %bb.12:
	s_ashr_i32 s18, s7, 31
	s_add_u32 s2, s6, s18
	s_mov_b32 s19, s18
	s_addc_u32 s3, s7, s18
	s_xor_b64 s[24:25], s[2:3], s[18:19]
	v_cvt_f32_u32_e32 v6, s24
	v_cvt_f32_u32_e32 v7, s25
	s_sub_u32 s2, 0, s24
	s_subb_u32 s3, 0, s25
	v_mov_b32_e32 v11, v3
	v_fmamk_f32 v6, v7, 0x4f800000, v6
	v_rcp_f32_e32 v6, v6
	s_nop 0
	v_mul_f32_e32 v6, 0x5f7ffffc, v6
	v_mul_f32_e32 v7, 0x2f800000, v6
	v_trunc_f32_e32 v7, v7
	v_fmamk_f32 v6, v7, 0xcf800000, v6
	v_cvt_u32_f32_e32 v9, v7
	v_cvt_u32_f32_e32 v12, v6
	v_mul_lo_u32 v6, s2, v9
	v_mul_hi_u32 v10, s2, v12
	v_mul_lo_u32 v7, s3, v12
	v_add_u32_e32 v6, v10, v6
	v_mul_lo_u32 v13, s2, v12
	v_add_u32_e32 v14, v6, v7
	v_mul_hi_u32 v7, v12, v14
	v_mul_lo_u32 v6, v12, v14
	v_mul_hi_u32 v10, v12, v13
	v_lshl_add_u64 v[6:7], v[10:11], 0, v[6:7]
	v_mul_hi_u32 v11, v9, v13
	v_mul_lo_u32 v13, v9, v13
	v_add_co_u32_e32 v6, vcc, v6, v13
	v_mul_hi_u32 v10, v9, v14
	s_nop 0
	v_addc_co_u32_e32 v6, vcc, v7, v11, vcc
	v_mov_b32_e32 v7, v3
	s_nop 0
	v_addc_co_u32_e32 v11, vcc, 0, v10, vcc
	v_mul_lo_u32 v10, v9, v14
	v_lshl_add_u64 v[6:7], v[6:7], 0, v[10:11]
	v_add_co_u32_e32 v12, vcc, v12, v6
	v_mul_lo_u32 v10, s2, v12
	s_nop 0
	v_addc_co_u32_e32 v9, vcc, v9, v7, vcc
	v_mul_lo_u32 v6, s2, v9
	v_mul_hi_u32 v7, s2, v12
	v_add_u32_e32 v6, v7, v6
	v_mul_lo_u32 v7, s3, v12
	v_add_u32_e32 v13, v6, v7
	v_mul_hi_u32 v15, v9, v10
	v_mul_lo_u32 v16, v9, v10
	v_mul_hi_u32 v7, v12, v13
	v_mul_lo_u32 v6, v12, v13
	v_mul_hi_u32 v10, v12, v10
	v_mov_b32_e32 v11, v3
	v_lshl_add_u64 v[6:7], v[10:11], 0, v[6:7]
	v_add_co_u32_e32 v6, vcc, v6, v16
	v_mul_hi_u32 v14, v9, v13
	s_nop 0
	v_addc_co_u32_e32 v6, vcc, v7, v15, vcc
	v_mul_lo_u32 v10, v9, v13
	s_nop 0
	v_addc_co_u32_e32 v11, vcc, 0, v14, vcc
	v_mov_b32_e32 v7, v3
	v_lshl_add_u64 v[6:7], v[6:7], 0, v[10:11]
	v_add_co_u32_e32 v14, vcc, v12, v6
	v_mov_b32_e32 v6, v5
	s_nop 0
	v_addc_co_u32_e32 v9, vcc, v9, v7, vcc
	v_mov_b32_e32 v7, v5
	v_lshl_add_u64 v[10:11], v[4:5], 0, v[6:7]
	v_xor_b32_e32 v17, v10, v6
	v_xor_b32_e32 v16, v11, v7
	v_mad_u64_u32 v[10:11], s[2:3], v17, v9, 0
	v_mul_hi_u32 v12, v17, v14
	v_mov_b32_e32 v13, v3
	v_lshl_add_u64 v[10:11], v[12:13], 0, v[10:11]
	v_mad_u64_u32 v[14:15], s[2:3], v16, v14, 0
	v_mad_u64_u32 v[12:13], s[2:3], v16, v9, 0
	v_add_co_u32_e32 v9, vcc, v10, v14
	v_xor_b32_e32 v6, s18, v6
	s_nop 0
	v_addc_co_u32_e32 v10, vcc, v11, v15, vcc
	v_mov_b32_e32 v11, v3
	s_nop 0
	v_addc_co_u32_e32 v13, vcc, 0, v13, vcc
	v_lshl_add_u64 v[10:11], v[10:11], 0, v[12:13]
	v_mul_lo_u32 v3, s25, v10
	v_mul_lo_u32 v9, s24, v11
	v_mad_u64_u32 v[12:13], s[2:3], s24, v10, 0
	v_add3_u32 v3, v13, v9, v3
	v_sub_u32_e32 v9, v16, v3
	v_mov_b32_e32 v13, s25
	v_sub_co_u32_e32 v17, vcc, v17, v12
	v_lshl_add_u64 v[14:15], v[10:11], 0, 1
	s_nop 0
	v_subb_co_u32_e64 v9, s[2:3], v9, v13, vcc
	v_subrev_co_u32_e64 v12, s[2:3], s24, v17
	v_subb_co_u32_e32 v3, vcc, v16, v3, vcc
	s_nop 0
	v_subbrev_co_u32_e64 v9, s[2:3], 0, v9, s[2:3]
	v_cmp_le_u32_e64 s[2:3], s25, v9
	v_cmp_le_u32_e32 vcc, s25, v3
	v_xor_b32_e32 v7, s18, v7
	v_cndmask_b32_e64 v13, 0, -1, s[2:3]
	v_cmp_le_u32_e64 s[2:3], s24, v12
	s_nop 1
	v_cndmask_b32_e64 v12, 0, -1, s[2:3]
	v_cmp_eq_u32_e64 s[2:3], s25, v9
	s_nop 1
	v_cndmask_b32_e64 v9, v13, v12, s[2:3]
	v_lshl_add_u64 v[12:13], v[10:11], 0, 2
	v_cmp_ne_u32_e64 s[2:3], 0, v9
	s_nop 1
	v_cndmask_b32_e64 v9, v15, v13, s[2:3]
	v_cndmask_b32_e64 v13, 0, -1, vcc
	v_cmp_le_u32_e32 vcc, s24, v17
	s_nop 1
	v_cndmask_b32_e64 v15, 0, -1, vcc
	v_cmp_eq_u32_e32 vcc, s25, v3
	s_nop 1
	v_cndmask_b32_e32 v3, v13, v15, vcc
	v_cmp_ne_u32_e32 vcc, 0, v3
	s_nop 1
	v_cndmask_b32_e32 v3, v11, v9, vcc
	v_cndmask_b32_e64 v9, v14, v12, s[2:3]
	v_cndmask_b32_e32 v9, v10, v9, vcc
	v_xor_b32_e32 v9, v9, v6
	v_xor_b32_e32 v3, v3, v7
	v_sub_co_u32_e32 v6, vcc, v9, v6
	s_nop 1
	v_subb_co_u32_e32 v7, vcc, v3, v7, vcc
.LBB60_13:
	s_or_saveexec_b64 s[2:3], s[16:17]
	s_load_dwordx4 s[16:19], s[0:1], 0x0
	s_xor_b64 exec, exec, s[2:3]
	s_cbranch_execz .LBB60_15
; %bb.14:
	v_cvt_f32_u32_e32 v3, s6
	s_sub_i32 s9, 0, s6
	v_rcp_iflag_f32_e32 v3, v3
	s_nop 0
	v_mul_f32_e32 v3, 0x4f7ffffe, v3
	v_cvt_u32_f32_e32 v3, v3
	v_mul_lo_u32 v6, s9, v3
	v_mul_hi_u32 v6, v3, v6
	v_add_u32_e32 v3, v3, v6
	v_mul_hi_u32 v3, v4, v3
	v_mul_lo_u32 v6, v3, s6
	v_sub_u32_e32 v6, v4, v6
	v_add_u32_e32 v7, 1, v3
	v_subrev_u32_e32 v9, s6, v6
	v_cmp_le_u32_e32 vcc, s6, v6
	s_nop 1
	v_cndmask_b32_e32 v6, v6, v9, vcc
	v_cndmask_b32_e32 v3, v3, v7, vcc
	v_add_u32_e32 v7, 1, v3
	v_cmp_le_u32_e32 vcc, s6, v6
	s_nop 1
	v_cndmask_b32_e32 v6, v3, v7, vcc
	v_mov_b32_e32 v7, 0
.LBB60_15:
	s_or_b64 exec, exec, s[2:3]
	v_mul_lo_u32 v2, v2, s8
	v_ashrrev_i32_e32 v3, 31, v2
	v_lshl_add_u64 v[10:11], v[6:7], 2, s[22:23]
	v_lshl_add_u64 v[2:3], v[2:3], 2, v[10:11]
	global_load_dword v2, v[2:3], off
	v_mul_lo_u32 v3, v7, s6
	v_mul_lo_u32 v9, v6, s7
	v_mad_u64_u32 v[6:7], s[2:3], v6, s6, 0
	v_add3_u32 v3, v7, v9, v3
	v_sub_co_u32_e32 v4, vcc, v4, v6
	v_mul_lo_u32 v6, v4, s15
	s_nop 0
	v_subb_co_u32_e32 v3, vcc, v5, v3, vcc
	v_mad_u64_u32 v[4:5], s[2:3], v4, s14, v[0:1]
	v_mul_lo_u32 v3, v3, s14
	v_add3_u32 v5, v3, v5, v6
	v_mov_b32_e32 v7, 0
	v_mad_u64_u32 v[0:1], s[2:3], v8, s12, v[0:1]
	s_waitcnt vmcnt(0)
	v_ashrrev_i32_e32 v3, 31, v2
	v_mul_lo_u32 v9, v2, s21
	v_mad_u64_u32 v[12:13], s[2:3], v2, s20, v[4:5]
	v_mul_lo_u32 v10, v3, s20
	v_add3_u32 v13, v10, v13, v9
	v_ashrrev_i32_e32 v3, 31, v13
	v_lshrrev_b32_e32 v6, 28, v3
	v_lshl_add_u64 v[12:13], v[12:13], 0, v[6:7]
	v_and_b32_e32 v12, -16, v12
	s_waitcnt lgkmcnt(0)
	v_lshl_add_u64 v[12:13], s[16:17], 0, v[12:13]
	global_load_dwordx4 v[12:15], v[12:13], off
	v_ashrrev_i32_e32 v3, 31, v8
	v_mul_lo_u32 v6, v8, s13
	v_mul_lo_u32 v3, v3, s12
	v_add3_u32 v1, v3, v1, v6
	v_ashrrev_i32_e32 v3, 31, v1
	v_lshrrev_b32_e32 v6, 28, v3
	v_lshl_add_u64 v[16:17], v[0:1], 0, v[6:7]
	v_and_b32_e32 v16, -16, v16
	v_lshl_add_u64 v[16:17], s[18:19], 0, v[16:17]
	s_waitcnt vmcnt(0)
	global_store_dwordx4 v[16:17], v[12:15], off
	s_and_b64 exec, exec, s[4:5]
	s_cbranch_execz .LBB60_25
; %bb.16:
	v_mad_u64_u32 v[2:3], s[2:3], v2, s20, 0
	v_lshlrev_b64 v[4:5], 2, v[4:5]
	s_ashr_i32 s11, s10, 31
	v_add3_u32 v3, v3, v9, v10
	v_or_b32_e32 v9, s11, v5
	v_mov_b32_e32 v8, v7
	v_cmp_ne_u64_e32 vcc, 0, v[8:9]
                                        ; implicit-def: $vgpr6_vgpr7
	s_and_saveexec_b64 s[2:3], vcc
	s_xor_b64 s[4:5], exec, s[2:3]
	s_cbranch_execz .LBB60_18
; %bb.17:
	s_add_u32 s2, s10, s11
	s_mov_b32 s8, s11
	s_mov_b32 s9, s11
	s_addc_u32 s3, s11, s11
	s_xor_b64 s[12:13], s[2:3], s[8:9]
	v_cvt_f32_u32_e32 v6, s12
	v_cvt_f32_u32_e32 v7, s13
	s_sub_u32 s2, 0, s12
	s_subb_u32 s3, 0, s13
	v_mov_b32_e32 v9, 0
	v_fmamk_f32 v6, v7, 0x4f800000, v6
	v_rcp_f32_e32 v6, v6
	s_nop 0
	v_mul_f32_e32 v6, 0x5f7ffffc, v6
	v_mul_f32_e32 v7, 0x2f800000, v6
	v_trunc_f32_e32 v7, v7
	v_fmamk_f32 v6, v7, 0xcf800000, v6
	v_cvt_u32_f32_e32 v10, v7
	v_cvt_u32_f32_e32 v11, v6
	v_mul_lo_u32 v6, s2, v10
	v_mul_hi_u32 v8, s2, v11
	v_mul_lo_u32 v7, s3, v11
	v_add_u32_e32 v6, v8, v6
	v_mul_lo_u32 v12, s2, v11
	v_add_u32_e32 v13, v6, v7
	v_mul_hi_u32 v7, v11, v13
	v_mul_lo_u32 v6, v11, v13
	v_mul_hi_u32 v8, v11, v12
	v_lshl_add_u64 v[6:7], v[8:9], 0, v[6:7]
	v_mul_hi_u32 v8, v10, v12
	v_mul_lo_u32 v12, v10, v12
	v_add_co_u32_e32 v6, vcc, v6, v12
	v_mul_hi_u32 v14, v10, v13
	s_nop 0
	v_addc_co_u32_e32 v8, vcc, v7, v8, vcc
	v_mul_lo_u32 v6, v10, v13
	s_nop 0
	v_addc_co_u32_e32 v7, vcc, 0, v14, vcc
	v_lshl_add_u64 v[6:7], v[8:9], 0, v[6:7]
	v_add_co_u32_e32 v11, vcc, v11, v6
	v_mul_lo_u32 v8, s2, v11
	s_nop 0
	v_addc_co_u32_e32 v10, vcc, v10, v7, vcc
	v_mul_lo_u32 v6, s2, v10
	v_mul_hi_u32 v7, s2, v11
	v_add_u32_e32 v6, v7, v6
	v_mul_lo_u32 v7, s3, v11
	v_add_u32_e32 v12, v6, v7
	v_mul_hi_u32 v14, v10, v8
	v_mul_lo_u32 v15, v10, v8
	v_mul_hi_u32 v7, v11, v12
	v_mul_lo_u32 v6, v11, v12
	v_mul_hi_u32 v8, v11, v8
	v_lshl_add_u64 v[6:7], v[8:9], 0, v[6:7]
	v_add_co_u32_e32 v6, vcc, v6, v15
	v_mul_hi_u32 v13, v10, v12
	s_nop 0
	v_addc_co_u32_e32 v8, vcc, v7, v14, vcc
	v_mul_lo_u32 v6, v10, v12
	s_nop 0
	v_addc_co_u32_e32 v7, vcc, 0, v13, vcc
	v_lshl_add_u64 v[6:7], v[8:9], 0, v[6:7]
	v_add_co_u32_e32 v12, vcc, v11, v6
	v_ashrrev_i32_e32 v6, 31, v5
	s_nop 0
	v_addc_co_u32_e32 v10, vcc, v10, v7, vcc
	v_mov_b32_e32 v7, v6
	v_lshl_add_u64 v[4:5], v[4:5], 0, v[6:7]
	v_xor_b32_e32 v14, v4, v6
	v_xor_b32_e32 v7, v5, v6
	v_mad_u64_u32 v[4:5], s[2:3], v14, v10, 0
	v_mul_hi_u32 v8, v14, v12
	v_lshl_add_u64 v[4:5], v[8:9], 0, v[4:5]
	v_mad_u64_u32 v[12:13], s[2:3], v7, v12, 0
	v_add_co_u32_e32 v4, vcc, v4, v12
	v_mad_u64_u32 v[10:11], s[2:3], v7, v10, 0
	s_nop 0
	v_addc_co_u32_e32 v8, vcc, v5, v13, vcc
	s_nop 1
	v_addc_co_u32_e32 v11, vcc, 0, v11, vcc
	v_lshl_add_u64 v[4:5], v[8:9], 0, v[10:11]
	v_mul_lo_u32 v10, s13, v4
	v_mul_lo_u32 v11, s12, v5
	v_mad_u64_u32 v[8:9], s[2:3], s12, v4, 0
	v_add3_u32 v12, v9, v11, v10
	v_sub_u32_e32 v9, v7, v12
	v_mov_b32_e32 v10, s13
	v_sub_co_u32_e32 v13, vcc, v14, v8
	s_nop 1
	v_subb_co_u32_e64 v8, s[2:3], v9, v10, vcc
	v_subrev_co_u32_e64 v9, s[2:3], s12, v13
	v_subb_co_u32_e32 v7, vcc, v7, v12, vcc
	s_nop 0
	v_subbrev_co_u32_e64 v8, s[2:3], 0, v8, s[2:3]
	v_cmp_le_u32_e64 s[2:3], s13, v8
	v_cmp_le_u32_e32 vcc, s13, v7
	s_nop 0
	v_cndmask_b32_e64 v10, 0, -1, s[2:3]
	v_cmp_le_u32_e64 s[2:3], s12, v9
	s_nop 1
	v_cndmask_b32_e64 v9, 0, -1, s[2:3]
	v_cmp_eq_u32_e64 s[2:3], s13, v8
	s_nop 1
	v_cndmask_b32_e64 v14, v10, v9, s[2:3]
	v_lshl_add_u64 v[8:9], v[4:5], 0, 2
	v_lshl_add_u64 v[10:11], v[4:5], 0, 1
	v_cmp_ne_u32_e64 s[2:3], 0, v14
	s_nop 1
	v_cndmask_b32_e64 v9, v11, v9, s[2:3]
	v_cndmask_b32_e64 v11, 0, -1, vcc
	v_cmp_le_u32_e32 vcc, s12, v13
	s_nop 1
	v_cndmask_b32_e64 v12, 0, -1, vcc
	v_cmp_eq_u32_e32 vcc, s13, v7
	s_nop 1
	v_cndmask_b32_e32 v7, v11, v12, vcc
	v_cmp_ne_u32_e32 vcc, 0, v7
	v_cndmask_b32_e64 v7, v10, v8, s[2:3]
	s_nop 0
	v_cndmask_b32_e32 v4, v4, v7, vcc
	v_xor_b32_e32 v7, s9, v6
	v_xor_b32_e32 v6, s8, v6
	v_cndmask_b32_e32 v5, v5, v9, vcc
	v_xor_b32_e32 v4, v4, v6
	v_xor_b32_e32 v5, v5, v7
	v_sub_co_u32_e32 v6, vcc, v4, v6
	s_nop 1
	v_subb_co_u32_e32 v7, vcc, v5, v7, vcc
                                        ; implicit-def: $vgpr4_vgpr5
.LBB60_18:
	s_or_saveexec_b64 s[2:3], s[4:5]
	v_cvt_f32_u32_e32 v8, s10
	s_xor_b64 exec, exec, s[2:3]
	s_cbranch_execz .LBB60_20
; %bb.19:
	v_rcp_iflag_f32_e32 v5, v8
	s_sub_i32 s4, 0, s10
	v_mul_f32_e32 v5, 0x4f7ffffe, v5
	v_cvt_u32_f32_e32 v5, v5
	v_mul_lo_u32 v6, s4, v5
	v_mul_hi_u32 v6, v5, v6
	v_add_u32_e32 v5, v5, v6
	v_mul_hi_u32 v5, v4, v5
	v_mul_lo_u32 v6, v5, s10
	v_sub_u32_e32 v4, v4, v6
	v_add_u32_e32 v7, 1, v5
	v_subrev_u32_e32 v6, s10, v4
	v_cmp_le_u32_e32 vcc, s10, v4
	s_nop 1
	v_cndmask_b32_e32 v4, v4, v6, vcc
	v_cndmask_b32_e32 v5, v5, v7, vcc
	v_add_u32_e32 v6, 1, v5
	v_cmp_le_u32_e32 vcc, s10, v4
	v_mov_b32_e32 v7, 0
	s_nop 0
	v_cndmask_b32_e32 v6, v5, v6, vcc
.LBB60_20:
	s_or_b64 exec, exec, s[2:3]
	s_mul_i32 s2, s7, s14
	s_mul_i32 s3, s6, s15
	v_mov_b32_e32 v4, s14
	s_add_i32 s4, s3, s2
	v_mad_u64_u32 v[2:3], s[2:3], s6, v4, v[2:3]
	v_add_u32_e32 v3, s4, v3
	v_lshl_add_u64 v[4:5], v[2:3], 0, v[6:7]
	v_ashrrev_i32_e32 v2, 31, v5
	v_lshrrev_b32_e32 v2, 30, v2
	v_mov_b32_e32 v3, 0
	v_lshl_add_u64 v[4:5], v[4:5], 0, v[2:3]
	v_and_b32_e32 v4, -4, v4
	v_lshl_add_u64 v[4:5], s[16:17], 0, v[4:5]
	global_load_dword v6, v[4:5], off
	s_load_dwordx2 s[2:3], s[0:1], 0x10
	v_or_b32_e32 v5, s11, v1
	v_mov_b32_e32 v4, v3
	v_cmp_ne_u64_e32 vcc, 0, v[4:5]
                                        ; implicit-def: $vgpr4_vgpr5
	s_and_saveexec_b64 s[0:1], vcc
	s_xor_b64 s[4:5], exec, s[0:1]
	s_cbranch_execz .LBB60_22
; %bb.21:
	s_add_u32 s0, s10, s11
	s_mov_b32 s6, s11
	s_mov_b32 s7, s11
	s_addc_u32 s1, s11, s11
	s_xor_b64 s[8:9], s[0:1], s[6:7]
	v_cvt_f32_u32_e32 v2, s8
	v_cvt_f32_u32_e32 v4, s9
	s_sub_u32 s0, 0, s8
	s_subb_u32 s1, 0, s9
	v_fmamk_f32 v2, v4, 0x4f800000, v2
	v_rcp_f32_e32 v2, v2
	s_nop 0
	v_mul_f32_e32 v2, 0x5f7ffffc, v2
	v_mul_f32_e32 v4, 0x2f800000, v2
	v_trunc_f32_e32 v4, v4
	v_fmamk_f32 v2, v4, 0xcf800000, v2
	v_cvt_u32_f32_e32 v7, v4
	v_cvt_u32_f32_e32 v8, v2
	v_mul_lo_u32 v2, s0, v7
	v_mul_hi_u32 v5, s0, v8
	v_mul_lo_u32 v4, s1, v8
	v_add_u32_e32 v2, v5, v2
	v_mul_lo_u32 v9, s0, v8
	v_add_u32_e32 v10, v2, v4
	v_mul_hi_u32 v5, v8, v10
	v_mul_lo_u32 v4, v8, v10
	v_mul_hi_u32 v2, v8, v9
	v_lshl_add_u64 v[4:5], v[2:3], 0, v[4:5]
	v_mul_hi_u32 v2, v7, v9
	v_mul_lo_u32 v9, v7, v9
	v_add_co_u32_e32 v4, vcc, v4, v9
	v_mul_hi_u32 v11, v7, v10
	s_nop 0
	v_addc_co_u32_e32 v2, vcc, v5, v2, vcc
	v_mul_lo_u32 v4, v7, v10
	s_nop 0
	v_addc_co_u32_e32 v5, vcc, 0, v11, vcc
	v_lshl_add_u64 v[4:5], v[2:3], 0, v[4:5]
	v_add_co_u32_e32 v8, vcc, v8, v4
	v_mul_hi_u32 v4, s0, v8
	s_nop 0
	v_addc_co_u32_e32 v7, vcc, v7, v5, vcc
	v_mul_lo_u32 v2, s0, v7
	v_add_u32_e32 v2, v4, v2
	v_mul_lo_u32 v4, s1, v8
	v_add_u32_e32 v9, v2, v4
	v_mul_lo_u32 v2, s0, v8
	v_mul_hi_u32 v11, v7, v2
	v_mul_lo_u32 v12, v7, v2
	v_mul_hi_u32 v5, v8, v9
	;; [unrolled: 2-line block ×3, first 2 shown]
	v_lshl_add_u64 v[4:5], v[2:3], 0, v[4:5]
	v_add_co_u32_e32 v2, vcc, v4, v12
	v_mul_hi_u32 v10, v7, v9
	s_nop 0
	v_addc_co_u32_e32 v2, vcc, v5, v11, vcc
	v_mul_lo_u32 v4, v7, v9
	s_nop 0
	v_addc_co_u32_e32 v5, vcc, 0, v10, vcc
	v_lshl_add_u64 v[4:5], v[2:3], 0, v[4:5]
	v_add_co_u32_e32 v10, vcc, v8, v4
	v_ashrrev_i32_e32 v4, 31, v1
	s_nop 0
	v_addc_co_u32_e32 v7, vcc, v7, v5, vcc
	v_mov_b32_e32 v5, v4
	v_lshl_add_u64 v[0:1], v[0:1], 0, v[4:5]
	v_xor_b32_e32 v12, v0, v4
	v_xor_b32_e32 v5, v1, v4
	v_mad_u64_u32 v[0:1], s[0:1], v12, v7, 0
	v_mul_hi_u32 v2, v12, v10
	v_lshl_add_u64 v[0:1], v[2:3], 0, v[0:1]
	v_mad_u64_u32 v[10:11], s[0:1], v5, v10, 0
	v_add_co_u32_e32 v0, vcc, v0, v10
	v_mad_u64_u32 v[8:9], s[0:1], v5, v7, 0
	s_nop 0
	v_addc_co_u32_e32 v2, vcc, v1, v11, vcc
	s_nop 1
	v_addc_co_u32_e32 v9, vcc, 0, v9, vcc
	v_lshl_add_u64 v[0:1], v[2:3], 0, v[8:9]
	v_mul_lo_u32 v7, s9, v0
	v_mul_lo_u32 v8, s8, v1
	v_mad_u64_u32 v[2:3], s[0:1], s8, v0, 0
	v_add3_u32 v7, v3, v8, v7
	v_sub_u32_e32 v3, v5, v7
	v_mov_b32_e32 v8, s9
	v_sub_co_u32_e32 v10, vcc, v12, v2
	s_nop 1
	v_subb_co_u32_e64 v2, s[0:1], v3, v8, vcc
	v_subrev_co_u32_e64 v3, s[0:1], s8, v10
	v_subb_co_u32_e32 v5, vcc, v5, v7, vcc
	s_nop 0
	v_subbrev_co_u32_e64 v2, s[0:1], 0, v2, s[0:1]
	v_cmp_le_u32_e64 s[0:1], s9, v2
	v_cmp_le_u32_e32 vcc, s9, v5
	s_nop 0
	v_cndmask_b32_e64 v8, 0, -1, s[0:1]
	v_cmp_le_u32_e64 s[0:1], s8, v3
	v_cndmask_b32_e64 v7, 0, -1, vcc
	v_cmp_le_u32_e32 vcc, s8, v10
	v_cndmask_b32_e64 v3, 0, -1, s[0:1]
	v_cmp_eq_u32_e64 s[0:1], s9, v2
	s_nop 1
	v_cndmask_b32_e64 v11, v8, v3, s[0:1]
	v_lshl_add_u64 v[2:3], v[0:1], 0, 2
	v_lshl_add_u64 v[8:9], v[0:1], 0, 1
	v_cmp_ne_u32_e64 s[0:1], 0, v11
	s_nop 1
	v_cndmask_b32_e64 v3, v9, v3, s[0:1]
	v_cndmask_b32_e64 v9, 0, -1, vcc
	v_cmp_eq_u32_e32 vcc, s9, v5
	v_cndmask_b32_e64 v2, v8, v2, s[0:1]
                                        ; implicit-def: $vgpr8
	s_nop 0
	v_cndmask_b32_e32 v5, v7, v9, vcc
	v_cmp_ne_u32_e32 vcc, 0, v5
	s_nop 1
	v_cndmask_b32_e32 v1, v1, v3, vcc
	v_cndmask_b32_e32 v0, v0, v2, vcc
	v_xor_b32_e32 v3, s6, v4
	v_xor_b32_e32 v2, s7, v4
	;; [unrolled: 1-line block ×4, first 2 shown]
	v_sub_co_u32_e32 v4, vcc, v0, v3
	s_nop 1
	v_subb_co_u32_e32 v5, vcc, v1, v2, vcc
                                        ; implicit-def: $vgpr0_vgpr1
.LBB60_22:
	s_andn2_saveexec_b64 s[0:1], s[4:5]
	s_cbranch_execz .LBB60_24
; %bb.23:
	v_rcp_iflag_f32_e32 v1, v8
	s_sub_i32 s4, 0, s10
	v_mov_b32_e32 v5, 0
	v_mul_f32_e32 v1, 0x4f7ffffe, v1
	v_cvt_u32_f32_e32 v1, v1
	v_mul_lo_u32 v2, s4, v1
	v_mul_hi_u32 v2, v1, v2
	v_add_u32_e32 v1, v1, v2
	v_mul_hi_u32 v1, v0, v1
	v_mul_lo_u32 v2, v1, s10
	v_sub_u32_e32 v0, v0, v2
	v_add_u32_e32 v3, 1, v1
	v_subrev_u32_e32 v2, s10, v0
	v_cmp_le_u32_e32 vcc, s10, v0
	s_nop 1
	v_cndmask_b32_e32 v0, v0, v2, vcc
	v_cndmask_b32_e32 v1, v1, v3, vcc
	v_add_u32_e32 v2, 1, v1
	v_cmp_le_u32_e32 vcc, s10, v0
	s_nop 1
	v_cndmask_b32_e32 v4, v1, v2, vcc
.LBB60_24:
	s_or_b64 exec, exec, s[0:1]
	s_waitcnt lgkmcnt(0)
	v_lshl_add_u64 v[0:1], v[4:5], 2, s[2:3]
	s_waitcnt vmcnt(0)
	global_store_dword v[0:1], v6, off
.LBB60_25:
	s_endpgm
	.section	.rodata,"a",@progbits
	.p2align	6, 0x0
	.amdhsa_kernel _ZN4vllm38cp_gather_indexer_k_quant_cache_kernelILi1EEEvPKcPcS3_PKiS5_illllliii
		.amdhsa_group_segment_fixed_size 4
		.amdhsa_private_segment_fixed_size 0
		.amdhsa_kernarg_size 360
		.amdhsa_user_sgpr_count 2
		.amdhsa_user_sgpr_dispatch_ptr 0
		.amdhsa_user_sgpr_queue_ptr 0
		.amdhsa_user_sgpr_kernarg_segment_ptr 1
		.amdhsa_user_sgpr_dispatch_id 0
		.amdhsa_user_sgpr_kernarg_preload_length 0
		.amdhsa_user_sgpr_kernarg_preload_offset 0
		.amdhsa_user_sgpr_private_segment_size 0
		.amdhsa_uses_dynamic_stack 0
		.amdhsa_enable_private_segment 0
		.amdhsa_system_sgpr_workgroup_id_x 1
		.amdhsa_system_sgpr_workgroup_id_y 1
		.amdhsa_system_sgpr_workgroup_id_z 0
		.amdhsa_system_sgpr_workgroup_info 0
		.amdhsa_system_vgpr_workitem_id 1
		.amdhsa_next_free_vgpr 18
		.amdhsa_next_free_sgpr 26
		.amdhsa_accum_offset 20
		.amdhsa_reserve_vcc 1
		.amdhsa_float_round_mode_32 0
		.amdhsa_float_round_mode_16_64 0
		.amdhsa_float_denorm_mode_32 3
		.amdhsa_float_denorm_mode_16_64 3
		.amdhsa_dx10_clamp 1
		.amdhsa_ieee_mode 1
		.amdhsa_fp16_overflow 0
		.amdhsa_tg_split 0
		.amdhsa_exception_fp_ieee_invalid_op 0
		.amdhsa_exception_fp_denorm_src 0
		.amdhsa_exception_fp_ieee_div_zero 0
		.amdhsa_exception_fp_ieee_overflow 0
		.amdhsa_exception_fp_ieee_underflow 0
		.amdhsa_exception_fp_ieee_inexact 0
		.amdhsa_exception_int_div_zero 0
	.end_amdhsa_kernel
	.section	.text._ZN4vllm38cp_gather_indexer_k_quant_cache_kernelILi1EEEvPKcPcS3_PKiS5_illllliii,"axG",@progbits,_ZN4vllm38cp_gather_indexer_k_quant_cache_kernelILi1EEEvPKcPcS3_PKiS5_illllliii,comdat
.Lfunc_end60:
	.size	_ZN4vllm38cp_gather_indexer_k_quant_cache_kernelILi1EEEvPKcPcS3_PKiS5_illllliii, .Lfunc_end60-_ZN4vllm38cp_gather_indexer_k_quant_cache_kernelILi1EEEvPKcPcS3_PKiS5_illllliii
                                        ; -- End function
	.section	.AMDGPU.csdata,"",@progbits
; Kernel info:
; codeLenInByte = 3576
; NumSgprs: 32
; NumVgprs: 18
; NumAgprs: 0
; TotalNumVgprs: 18
; ScratchSize: 0
; MemoryBound: 0
; FloatMode: 240
; IeeeMode: 1
; LDSByteSize: 4 bytes/workgroup (compile time only)
; SGPRBlocks: 3
; VGPRBlocks: 2
; NumSGPRsForWavesPerEU: 32
; NumVGPRsForWavesPerEU: 18
; AccumOffset: 20
; Occupancy: 8
; WaveLimiterHint : 1
; COMPUTE_PGM_RSRC2:SCRATCH_EN: 0
; COMPUTE_PGM_RSRC2:USER_SGPR: 2
; COMPUTE_PGM_RSRC2:TRAP_HANDLER: 0
; COMPUTE_PGM_RSRC2:TGID_X_EN: 1
; COMPUTE_PGM_RSRC2:TGID_Y_EN: 1
; COMPUTE_PGM_RSRC2:TGID_Z_EN: 0
; COMPUTE_PGM_RSRC2:TIDIG_COMP_CNT: 1
; COMPUTE_PGM_RSRC3_GFX90A:ACCUM_OFFSET: 4
; COMPUTE_PGM_RSRC3_GFX90A:TG_SPLIT: 0
	.section	.text._ZN4vllm38cp_gather_indexer_k_quant_cache_kernelILi2EEEvPKcPcS3_PKiS5_illllliii,"axG",@progbits,_ZN4vllm38cp_gather_indexer_k_quant_cache_kernelILi2EEEvPKcPcS3_PKiS5_illllliii,comdat
	.protected	_ZN4vllm38cp_gather_indexer_k_quant_cache_kernelILi2EEEvPKcPcS3_PKiS5_illllliii ; -- Begin function _ZN4vllm38cp_gather_indexer_k_quant_cache_kernelILi2EEEvPKcPcS3_PKiS5_illllliii
	.globl	_ZN4vllm38cp_gather_indexer_k_quant_cache_kernelILi2EEEvPKcPcS3_PKiS5_illllliii
	.p2align	8
	.type	_ZN4vllm38cp_gather_indexer_k_quant_cache_kernelILi2EEEvPKcPcS3_PKiS5_illllliii,@function
_ZN4vllm38cp_gather_indexer_k_quant_cache_kernelILi2EEEvPKcPcS3_PKiS5_illllliii: ; @_ZN4vllm38cp_gather_indexer_k_quant_cache_kernelILi2EEEvPKcPcS3_PKiS5_illllliii
; %bb.0:
	s_load_dwordx2 s[6:7], s[0:1], 0x20
	s_load_dword s10, s[0:1], 0x74
	v_bfe_u32 v1, v0, 10, 10
	v_and_b32_e32 v5, 0x3ff, v0
	v_cmp_eq_u32_e64 s[4:5], 0, v5
	v_lshlrev_b32_e32 v4, 2, v1
	s_and_saveexec_b64 s[8:9], s[4:5]
	s_cbranch_execz .LBB61_2
; %bb.1:
	v_mov_b32_e32 v0, -1
	ds_write_b32 v4, v0
.LBB61_2:
	s_or_b64 exec, exec, s[8:9]
	s_waitcnt lgkmcnt(0)
	s_lshr_b32 s8, s10, 16
	s_and_b32 s10, s10, 0xffff
	v_cvt_f32_u32_e32 v0, s10
	s_load_dword s11, s[0:1], 0x28
	s_mul_i32 s2, s2, s8
	s_sub_i32 s9, 0, s10
	v_rcp_iflag_f32_e32 v0, v0
	v_add_u32_e32 v8, s2, v1
	s_waitcnt lgkmcnt(0)
	s_add_i32 s2, s11, s10
	s_add_i32 s2, s2, -1
	v_mul_f32_e32 v0, 0x4f7ffffe, v0
	v_cvt_u32_f32_e32 v0, v0
	s_ashr_i32 s8, s2, 31
	s_abs_i32 s2, s2
	v_readfirstlane_b32 s12, v0
	s_mul_i32 s9, s9, s12
	s_mul_hi_u32 s9, s12, s9
	s_add_i32 s12, s12, s9
	s_mul_hi_u32 s9, s2, s12
	s_mul_i32 s12, s9, s10
	s_sub_i32 s2, s2, s12
	s_add_i32 s12, s9, 1
	s_sub_i32 s13, s2, s10
	s_cmp_ge_u32 s2, s10
	s_cselect_b32 s9, s12, s9
	s_cselect_b32 s2, s13, s2
	s_add_i32 s12, s9, 1
	s_cmp_ge_u32 s2, s10
	s_cselect_b32 s2, s12, s9
	s_xor_b32 s2, s2, s8
	s_sub_i32 s2, s2, s8
	s_cmp_lt_i32 s2, 1
	s_barrier
	s_cbranch_scc1 .LBB61_9
; %bb.3:
	v_mov_b32_e32 v0, v5
	s_branch .LBB61_5
.LBB61_4:                               ;   in Loop: Header=BB61_5 Depth=1
	s_or_b64 exec, exec, s[8:9]
	s_add_i32 s2, s2, -1
	s_cmp_eq_u32 s2, 0
	v_add_u32_e32 v0, s10, v0
	s_cbranch_scc1 .LBB61_9
.LBB61_5:                               ; =>This Inner Loop Header: Depth=1
	v_cmp_gt_i32_e32 vcc, s11, v0
	s_and_saveexec_b64 s[8:9], vcc
	s_cbranch_execz .LBB61_4
; %bb.6:                                ;   in Loop: Header=BB61_5 Depth=1
	v_ashrrev_i32_e32 v1, 31, v0
	v_lshl_add_u64 v[2:3], v[0:1], 2, s[6:7]
	global_load_dword v1, v[2:3], off
	s_waitcnt vmcnt(0)
	v_cmp_ge_i32_e32 vcc, v8, v1
	s_and_b64 exec, exec, vcc
	s_cbranch_execz .LBB61_4
; %bb.7:                                ;   in Loop: Header=BB61_5 Depth=1
	global_load_dword v1, v[2:3], off offset:4
	s_waitcnt vmcnt(0)
	v_cmp_lt_i32_e32 vcc, v8, v1
	s_and_b64 exec, exec, vcc
	s_cbranch_execz .LBB61_4
; %bb.8:                                ;   in Loop: Header=BB61_5 Depth=1
	ds_write_b32 v4, v0
	s_branch .LBB61_4
.LBB61_9:
	s_load_dwordx4 s[12:15], s[0:1], 0x30
	s_mul_i32 s3, s3, s10
	v_add_lshl_u32 v0, s3, v5, 4
	v_ashrrev_i32_e32 v1, 31, v0
	s_waitcnt lgkmcnt(0)
	v_cmp_gt_i64_e32 vcc, s[14:15], v[0:1]
	s_barrier
	s_and_saveexec_b64 s[2:3], vcc
	s_cbranch_execz .LBB61_25
; %bb.10:
	s_load_dwordx4 s[8:11], s[0:1], 0x58
	ds_read_b32 v2, v4
	s_waitcnt lgkmcnt(0)
	v_cmp_gt_i32_e32 vcc, s9, v8
	v_cmp_lt_i32_e64 s[2:3], -1, v2
	s_and_b64 s[2:3], vcc, s[2:3]
	s_and_b64 exec, exec, s[2:3]
	s_cbranch_execz .LBB61_25
; %bb.11:
	v_mov_b32_e32 v3, 0
	v_lshl_add_u64 v[4:5], v[2:3], 2, s[6:7]
	global_load_dword v4, v[4:5], off
	s_load_dwordx2 s[6:7], s[0:1], 0x50
	s_load_dwordx2 s[22:23], s[0:1], 0x18
	;; [unrolled: 1-line block ×3, first 2 shown]
	v_mov_b32_e32 v6, v3
	s_waitcnt vmcnt(0)
	v_sub_u32_e32 v4, v8, v4
	v_ashrrev_i32_e32 v5, 31, v4
	s_waitcnt lgkmcnt(0)
	v_or_b32_e32 v7, s7, v5
	v_cmp_ne_u64_e32 vcc, 0, v[6:7]
                                        ; implicit-def: $vgpr6_vgpr7
	s_and_saveexec_b64 s[2:3], vcc
	s_xor_b64 s[16:17], exec, s[2:3]
	s_cbranch_execz .LBB61_13
; %bb.12:
	s_ashr_i32 s18, s7, 31
	s_add_u32 s2, s6, s18
	s_mov_b32 s19, s18
	s_addc_u32 s3, s7, s18
	s_xor_b64 s[24:25], s[2:3], s[18:19]
	v_cvt_f32_u32_e32 v6, s24
	v_cvt_f32_u32_e32 v7, s25
	s_sub_u32 s2, 0, s24
	s_subb_u32 s3, 0, s25
	v_mov_b32_e32 v11, v3
	v_fmamk_f32 v6, v7, 0x4f800000, v6
	v_rcp_f32_e32 v6, v6
	s_nop 0
	v_mul_f32_e32 v6, 0x5f7ffffc, v6
	v_mul_f32_e32 v7, 0x2f800000, v6
	v_trunc_f32_e32 v7, v7
	v_fmamk_f32 v6, v7, 0xcf800000, v6
	v_cvt_u32_f32_e32 v9, v7
	v_cvt_u32_f32_e32 v12, v6
	v_mul_lo_u32 v6, s2, v9
	v_mul_hi_u32 v10, s2, v12
	v_mul_lo_u32 v7, s3, v12
	v_add_u32_e32 v6, v10, v6
	v_mul_lo_u32 v13, s2, v12
	v_add_u32_e32 v14, v6, v7
	v_mul_hi_u32 v7, v12, v14
	v_mul_lo_u32 v6, v12, v14
	v_mul_hi_u32 v10, v12, v13
	v_lshl_add_u64 v[6:7], v[10:11], 0, v[6:7]
	v_mul_hi_u32 v11, v9, v13
	v_mul_lo_u32 v13, v9, v13
	v_add_co_u32_e32 v6, vcc, v6, v13
	v_mul_hi_u32 v10, v9, v14
	s_nop 0
	v_addc_co_u32_e32 v6, vcc, v7, v11, vcc
	v_mov_b32_e32 v7, v3
	s_nop 0
	v_addc_co_u32_e32 v11, vcc, 0, v10, vcc
	v_mul_lo_u32 v10, v9, v14
	v_lshl_add_u64 v[6:7], v[6:7], 0, v[10:11]
	v_add_co_u32_e32 v12, vcc, v12, v6
	v_mul_lo_u32 v10, s2, v12
	s_nop 0
	v_addc_co_u32_e32 v9, vcc, v9, v7, vcc
	v_mul_lo_u32 v6, s2, v9
	v_mul_hi_u32 v7, s2, v12
	v_add_u32_e32 v6, v7, v6
	v_mul_lo_u32 v7, s3, v12
	v_add_u32_e32 v13, v6, v7
	v_mul_hi_u32 v15, v9, v10
	v_mul_lo_u32 v16, v9, v10
	v_mul_hi_u32 v7, v12, v13
	v_mul_lo_u32 v6, v12, v13
	v_mul_hi_u32 v10, v12, v10
	v_mov_b32_e32 v11, v3
	v_lshl_add_u64 v[6:7], v[10:11], 0, v[6:7]
	v_add_co_u32_e32 v6, vcc, v6, v16
	v_mul_hi_u32 v14, v9, v13
	s_nop 0
	v_addc_co_u32_e32 v6, vcc, v7, v15, vcc
	v_mul_lo_u32 v10, v9, v13
	s_nop 0
	v_addc_co_u32_e32 v11, vcc, 0, v14, vcc
	v_mov_b32_e32 v7, v3
	v_lshl_add_u64 v[6:7], v[6:7], 0, v[10:11]
	v_add_co_u32_e32 v14, vcc, v12, v6
	v_mov_b32_e32 v6, v5
	s_nop 0
	v_addc_co_u32_e32 v9, vcc, v9, v7, vcc
	v_mov_b32_e32 v7, v5
	v_lshl_add_u64 v[10:11], v[4:5], 0, v[6:7]
	v_xor_b32_e32 v17, v10, v6
	v_xor_b32_e32 v16, v11, v7
	v_mad_u64_u32 v[10:11], s[2:3], v17, v9, 0
	v_mul_hi_u32 v12, v17, v14
	v_mov_b32_e32 v13, v3
	v_lshl_add_u64 v[10:11], v[12:13], 0, v[10:11]
	v_mad_u64_u32 v[14:15], s[2:3], v16, v14, 0
	v_mad_u64_u32 v[12:13], s[2:3], v16, v9, 0
	v_add_co_u32_e32 v9, vcc, v10, v14
	v_xor_b32_e32 v6, s18, v6
	s_nop 0
	v_addc_co_u32_e32 v10, vcc, v11, v15, vcc
	v_mov_b32_e32 v11, v3
	s_nop 0
	v_addc_co_u32_e32 v13, vcc, 0, v13, vcc
	v_lshl_add_u64 v[10:11], v[10:11], 0, v[12:13]
	v_mul_lo_u32 v3, s25, v10
	v_mul_lo_u32 v9, s24, v11
	v_mad_u64_u32 v[12:13], s[2:3], s24, v10, 0
	v_add3_u32 v3, v13, v9, v3
	v_sub_u32_e32 v9, v16, v3
	v_mov_b32_e32 v13, s25
	v_sub_co_u32_e32 v17, vcc, v17, v12
	v_lshl_add_u64 v[14:15], v[10:11], 0, 1
	s_nop 0
	v_subb_co_u32_e64 v9, s[2:3], v9, v13, vcc
	v_subrev_co_u32_e64 v12, s[2:3], s24, v17
	v_subb_co_u32_e32 v3, vcc, v16, v3, vcc
	s_nop 0
	v_subbrev_co_u32_e64 v9, s[2:3], 0, v9, s[2:3]
	v_cmp_le_u32_e64 s[2:3], s25, v9
	v_cmp_le_u32_e32 vcc, s25, v3
	v_xor_b32_e32 v7, s18, v7
	v_cndmask_b32_e64 v13, 0, -1, s[2:3]
	v_cmp_le_u32_e64 s[2:3], s24, v12
	s_nop 1
	v_cndmask_b32_e64 v12, 0, -1, s[2:3]
	v_cmp_eq_u32_e64 s[2:3], s25, v9
	s_nop 1
	v_cndmask_b32_e64 v9, v13, v12, s[2:3]
	v_lshl_add_u64 v[12:13], v[10:11], 0, 2
	v_cmp_ne_u32_e64 s[2:3], 0, v9
	s_nop 1
	v_cndmask_b32_e64 v9, v15, v13, s[2:3]
	v_cndmask_b32_e64 v13, 0, -1, vcc
	v_cmp_le_u32_e32 vcc, s24, v17
	s_nop 1
	v_cndmask_b32_e64 v15, 0, -1, vcc
	v_cmp_eq_u32_e32 vcc, s25, v3
	s_nop 1
	v_cndmask_b32_e32 v3, v13, v15, vcc
	v_cmp_ne_u32_e32 vcc, 0, v3
	s_nop 1
	v_cndmask_b32_e32 v3, v11, v9, vcc
	v_cndmask_b32_e64 v9, v14, v12, s[2:3]
	v_cndmask_b32_e32 v9, v10, v9, vcc
	v_xor_b32_e32 v9, v9, v6
	v_xor_b32_e32 v3, v3, v7
	v_sub_co_u32_e32 v6, vcc, v9, v6
	s_nop 1
	v_subb_co_u32_e32 v7, vcc, v3, v7, vcc
.LBB61_13:
	s_or_saveexec_b64 s[2:3], s[16:17]
	s_load_dwordx4 s[16:19], s[0:1], 0x0
	s_xor_b64 exec, exec, s[2:3]
	s_cbranch_execz .LBB61_15
; %bb.14:
	v_cvt_f32_u32_e32 v3, s6
	s_sub_i32 s9, 0, s6
	v_rcp_iflag_f32_e32 v3, v3
	s_nop 0
	v_mul_f32_e32 v3, 0x4f7ffffe, v3
	v_cvt_u32_f32_e32 v3, v3
	v_mul_lo_u32 v6, s9, v3
	v_mul_hi_u32 v6, v3, v6
	v_add_u32_e32 v3, v3, v6
	v_mul_hi_u32 v3, v4, v3
	v_mul_lo_u32 v6, v3, s6
	v_sub_u32_e32 v6, v4, v6
	v_add_u32_e32 v7, 1, v3
	v_subrev_u32_e32 v9, s6, v6
	v_cmp_le_u32_e32 vcc, s6, v6
	s_nop 1
	v_cndmask_b32_e32 v6, v6, v9, vcc
	v_cndmask_b32_e32 v3, v3, v7, vcc
	v_add_u32_e32 v7, 1, v3
	v_cmp_le_u32_e32 vcc, s6, v6
	s_nop 1
	v_cndmask_b32_e32 v6, v3, v7, vcc
	v_mov_b32_e32 v7, 0
.LBB61_15:
	s_or_b64 exec, exec, s[2:3]
	v_mul_lo_u32 v2, v2, s8
	v_ashrrev_i32_e32 v3, 31, v2
	v_lshl_add_u64 v[10:11], v[6:7], 2, s[22:23]
	v_lshl_add_u64 v[2:3], v[2:3], 2, v[10:11]
	global_load_dword v2, v[2:3], off
	v_mul_lo_u32 v3, v7, s6
	v_mul_lo_u32 v9, v6, s7
	v_mad_u64_u32 v[6:7], s[2:3], v6, s6, 0
	v_add3_u32 v3, v7, v9, v3
	v_sub_co_u32_e32 v4, vcc, v4, v6
	v_mul_lo_u32 v6, v4, s15
	s_nop 0
	v_subb_co_u32_e32 v3, vcc, v5, v3, vcc
	v_mad_u64_u32 v[4:5], s[2:3], v4, s14, v[0:1]
	v_mul_lo_u32 v3, v3, s14
	v_add3_u32 v5, v3, v5, v6
	v_mov_b32_e32 v7, 0
	v_mad_u64_u32 v[0:1], s[2:3], v8, s12, v[0:1]
	s_waitcnt vmcnt(0)
	v_ashrrev_i32_e32 v3, 31, v2
	v_mul_lo_u32 v9, v2, s21
	v_mad_u64_u32 v[12:13], s[2:3], v2, s20, v[4:5]
	v_mul_lo_u32 v10, v3, s20
	v_add3_u32 v13, v10, v13, v9
	v_ashrrev_i32_e32 v3, 31, v13
	v_lshrrev_b32_e32 v6, 28, v3
	v_lshl_add_u64 v[12:13], v[12:13], 0, v[6:7]
	v_and_b32_e32 v12, -16, v12
	s_waitcnt lgkmcnt(0)
	v_lshl_add_u64 v[12:13], s[16:17], 0, v[12:13]
	global_load_dwordx4 v[12:15], v[12:13], off
	v_ashrrev_i32_e32 v3, 31, v8
	v_mul_lo_u32 v6, v8, s13
	v_mul_lo_u32 v3, v3, s12
	v_add3_u32 v1, v3, v1, v6
	v_ashrrev_i32_e32 v3, 31, v1
	v_lshrrev_b32_e32 v6, 28, v3
	v_lshl_add_u64 v[16:17], v[0:1], 0, v[6:7]
	v_and_b32_e32 v16, -16, v16
	v_lshl_add_u64 v[16:17], s[18:19], 0, v[16:17]
	s_waitcnt vmcnt(0)
	global_store_dwordx4 v[16:17], v[12:15], off
	s_and_b64 exec, exec, s[4:5]
	s_cbranch_execz .LBB61_25
; %bb.16:
	v_mad_u64_u32 v[2:3], s[2:3], v2, s20, 0
	v_lshlrev_b64 v[4:5], 2, v[4:5]
	s_ashr_i32 s11, s10, 31
	v_add3_u32 v3, v3, v9, v10
	v_or_b32_e32 v9, s11, v5
	v_mov_b32_e32 v8, v7
	v_cmp_ne_u64_e32 vcc, 0, v[8:9]
                                        ; implicit-def: $vgpr6_vgpr7
	s_and_saveexec_b64 s[2:3], vcc
	s_xor_b64 s[4:5], exec, s[2:3]
	s_cbranch_execz .LBB61_18
; %bb.17:
	s_add_u32 s2, s10, s11
	s_mov_b32 s8, s11
	s_mov_b32 s9, s11
	s_addc_u32 s3, s11, s11
	s_xor_b64 s[12:13], s[2:3], s[8:9]
	v_cvt_f32_u32_e32 v6, s12
	v_cvt_f32_u32_e32 v7, s13
	s_sub_u32 s2, 0, s12
	s_subb_u32 s3, 0, s13
	v_mov_b32_e32 v9, 0
	v_fmamk_f32 v6, v7, 0x4f800000, v6
	v_rcp_f32_e32 v6, v6
	s_nop 0
	v_mul_f32_e32 v6, 0x5f7ffffc, v6
	v_mul_f32_e32 v7, 0x2f800000, v6
	v_trunc_f32_e32 v7, v7
	v_fmamk_f32 v6, v7, 0xcf800000, v6
	v_cvt_u32_f32_e32 v10, v7
	v_cvt_u32_f32_e32 v11, v6
	v_mul_lo_u32 v6, s2, v10
	v_mul_hi_u32 v8, s2, v11
	v_mul_lo_u32 v7, s3, v11
	v_add_u32_e32 v6, v8, v6
	v_mul_lo_u32 v12, s2, v11
	v_add_u32_e32 v13, v6, v7
	v_mul_hi_u32 v7, v11, v13
	v_mul_lo_u32 v6, v11, v13
	v_mul_hi_u32 v8, v11, v12
	v_lshl_add_u64 v[6:7], v[8:9], 0, v[6:7]
	v_mul_hi_u32 v8, v10, v12
	v_mul_lo_u32 v12, v10, v12
	v_add_co_u32_e32 v6, vcc, v6, v12
	v_mul_hi_u32 v14, v10, v13
	s_nop 0
	v_addc_co_u32_e32 v8, vcc, v7, v8, vcc
	v_mul_lo_u32 v6, v10, v13
	s_nop 0
	v_addc_co_u32_e32 v7, vcc, 0, v14, vcc
	v_lshl_add_u64 v[6:7], v[8:9], 0, v[6:7]
	v_add_co_u32_e32 v11, vcc, v11, v6
	v_mul_lo_u32 v8, s2, v11
	s_nop 0
	v_addc_co_u32_e32 v10, vcc, v10, v7, vcc
	v_mul_lo_u32 v6, s2, v10
	v_mul_hi_u32 v7, s2, v11
	v_add_u32_e32 v6, v7, v6
	v_mul_lo_u32 v7, s3, v11
	v_add_u32_e32 v12, v6, v7
	v_mul_hi_u32 v14, v10, v8
	v_mul_lo_u32 v15, v10, v8
	v_mul_hi_u32 v7, v11, v12
	v_mul_lo_u32 v6, v11, v12
	v_mul_hi_u32 v8, v11, v8
	v_lshl_add_u64 v[6:7], v[8:9], 0, v[6:7]
	v_add_co_u32_e32 v6, vcc, v6, v15
	v_mul_hi_u32 v13, v10, v12
	s_nop 0
	v_addc_co_u32_e32 v8, vcc, v7, v14, vcc
	v_mul_lo_u32 v6, v10, v12
	s_nop 0
	v_addc_co_u32_e32 v7, vcc, 0, v13, vcc
	v_lshl_add_u64 v[6:7], v[8:9], 0, v[6:7]
	v_add_co_u32_e32 v12, vcc, v11, v6
	v_ashrrev_i32_e32 v6, 31, v5
	s_nop 0
	v_addc_co_u32_e32 v10, vcc, v10, v7, vcc
	v_mov_b32_e32 v7, v6
	v_lshl_add_u64 v[4:5], v[4:5], 0, v[6:7]
	v_xor_b32_e32 v14, v4, v6
	v_xor_b32_e32 v7, v5, v6
	v_mad_u64_u32 v[4:5], s[2:3], v14, v10, 0
	v_mul_hi_u32 v8, v14, v12
	v_lshl_add_u64 v[4:5], v[8:9], 0, v[4:5]
	v_mad_u64_u32 v[12:13], s[2:3], v7, v12, 0
	v_add_co_u32_e32 v4, vcc, v4, v12
	v_mad_u64_u32 v[10:11], s[2:3], v7, v10, 0
	s_nop 0
	v_addc_co_u32_e32 v8, vcc, v5, v13, vcc
	s_nop 1
	v_addc_co_u32_e32 v11, vcc, 0, v11, vcc
	v_lshl_add_u64 v[4:5], v[8:9], 0, v[10:11]
	v_mul_lo_u32 v10, s13, v4
	v_mul_lo_u32 v11, s12, v5
	v_mad_u64_u32 v[8:9], s[2:3], s12, v4, 0
	v_add3_u32 v12, v9, v11, v10
	v_sub_u32_e32 v9, v7, v12
	v_mov_b32_e32 v10, s13
	v_sub_co_u32_e32 v13, vcc, v14, v8
	s_nop 1
	v_subb_co_u32_e64 v8, s[2:3], v9, v10, vcc
	v_subrev_co_u32_e64 v9, s[2:3], s12, v13
	v_subb_co_u32_e32 v7, vcc, v7, v12, vcc
	s_nop 0
	v_subbrev_co_u32_e64 v8, s[2:3], 0, v8, s[2:3]
	v_cmp_le_u32_e64 s[2:3], s13, v8
	v_cmp_le_u32_e32 vcc, s13, v7
	s_nop 0
	v_cndmask_b32_e64 v10, 0, -1, s[2:3]
	v_cmp_le_u32_e64 s[2:3], s12, v9
	s_nop 1
	v_cndmask_b32_e64 v9, 0, -1, s[2:3]
	v_cmp_eq_u32_e64 s[2:3], s13, v8
	s_nop 1
	v_cndmask_b32_e64 v14, v10, v9, s[2:3]
	v_lshl_add_u64 v[8:9], v[4:5], 0, 2
	v_lshl_add_u64 v[10:11], v[4:5], 0, 1
	v_cmp_ne_u32_e64 s[2:3], 0, v14
	s_nop 1
	v_cndmask_b32_e64 v9, v11, v9, s[2:3]
	v_cndmask_b32_e64 v11, 0, -1, vcc
	v_cmp_le_u32_e32 vcc, s12, v13
	s_nop 1
	v_cndmask_b32_e64 v12, 0, -1, vcc
	v_cmp_eq_u32_e32 vcc, s13, v7
	s_nop 1
	v_cndmask_b32_e32 v7, v11, v12, vcc
	v_cmp_ne_u32_e32 vcc, 0, v7
	v_cndmask_b32_e64 v7, v10, v8, s[2:3]
	s_nop 0
	v_cndmask_b32_e32 v4, v4, v7, vcc
	v_xor_b32_e32 v7, s9, v6
	v_xor_b32_e32 v6, s8, v6
	v_cndmask_b32_e32 v5, v5, v9, vcc
	v_xor_b32_e32 v4, v4, v6
	v_xor_b32_e32 v5, v5, v7
	v_sub_co_u32_e32 v6, vcc, v4, v6
	s_nop 1
	v_subb_co_u32_e32 v7, vcc, v5, v7, vcc
                                        ; implicit-def: $vgpr4_vgpr5
.LBB61_18:
	s_or_saveexec_b64 s[2:3], s[4:5]
	v_cvt_f32_u32_e32 v8, s10
	s_xor_b64 exec, exec, s[2:3]
	s_cbranch_execz .LBB61_20
; %bb.19:
	v_rcp_iflag_f32_e32 v5, v8
	s_sub_i32 s4, 0, s10
	v_mul_f32_e32 v5, 0x4f7ffffe, v5
	v_cvt_u32_f32_e32 v5, v5
	v_mul_lo_u32 v6, s4, v5
	v_mul_hi_u32 v6, v5, v6
	v_add_u32_e32 v5, v5, v6
	v_mul_hi_u32 v5, v4, v5
	v_mul_lo_u32 v6, v5, s10
	v_sub_u32_e32 v4, v4, v6
	v_add_u32_e32 v7, 1, v5
	v_subrev_u32_e32 v6, s10, v4
	v_cmp_le_u32_e32 vcc, s10, v4
	s_nop 1
	v_cndmask_b32_e32 v4, v4, v6, vcc
	v_cndmask_b32_e32 v5, v5, v7, vcc
	v_add_u32_e32 v6, 1, v5
	v_cmp_le_u32_e32 vcc, s10, v4
	v_mov_b32_e32 v7, 0
	s_nop 0
	v_cndmask_b32_e32 v6, v5, v6, vcc
.LBB61_20:
	s_or_b64 exec, exec, s[2:3]
	s_mul_i32 s2, s7, s14
	s_mul_i32 s3, s6, s15
	v_mov_b32_e32 v4, s14
	s_add_i32 s4, s3, s2
	v_mad_u64_u32 v[2:3], s[2:3], s6, v4, v[2:3]
	v_add_u32_e32 v3, s4, v3
	v_lshl_add_u64 v[4:5], v[2:3], 0, v[6:7]
	v_ashrrev_i32_e32 v2, 31, v5
	v_lshrrev_b32_e32 v2, 30, v2
	v_mov_b32_e32 v3, 0
	v_lshl_add_u64 v[4:5], v[4:5], 0, v[2:3]
	v_and_b32_e32 v4, -4, v4
	v_lshl_add_u64 v[4:5], s[16:17], 0, v[4:5]
	global_load_dword v6, v[4:5], off
	s_load_dwordx2 s[2:3], s[0:1], 0x10
	v_or_b32_e32 v5, s11, v1
	v_mov_b32_e32 v4, v3
	v_cmp_ne_u64_e32 vcc, 0, v[4:5]
                                        ; implicit-def: $vgpr4_vgpr5
	s_and_saveexec_b64 s[0:1], vcc
	s_xor_b64 s[4:5], exec, s[0:1]
	s_cbranch_execz .LBB61_22
; %bb.21:
	s_add_u32 s0, s10, s11
	s_mov_b32 s6, s11
	s_mov_b32 s7, s11
	s_addc_u32 s1, s11, s11
	s_xor_b64 s[8:9], s[0:1], s[6:7]
	v_cvt_f32_u32_e32 v2, s8
	v_cvt_f32_u32_e32 v4, s9
	s_sub_u32 s0, 0, s8
	s_subb_u32 s1, 0, s9
	v_fmamk_f32 v2, v4, 0x4f800000, v2
	v_rcp_f32_e32 v2, v2
	s_nop 0
	v_mul_f32_e32 v2, 0x5f7ffffc, v2
	v_mul_f32_e32 v4, 0x2f800000, v2
	v_trunc_f32_e32 v4, v4
	v_fmamk_f32 v2, v4, 0xcf800000, v2
	v_cvt_u32_f32_e32 v7, v4
	v_cvt_u32_f32_e32 v8, v2
	v_mul_lo_u32 v2, s0, v7
	v_mul_hi_u32 v5, s0, v8
	v_mul_lo_u32 v4, s1, v8
	v_add_u32_e32 v2, v5, v2
	v_mul_lo_u32 v9, s0, v8
	v_add_u32_e32 v10, v2, v4
	v_mul_hi_u32 v5, v8, v10
	v_mul_lo_u32 v4, v8, v10
	v_mul_hi_u32 v2, v8, v9
	v_lshl_add_u64 v[4:5], v[2:3], 0, v[4:5]
	v_mul_hi_u32 v2, v7, v9
	v_mul_lo_u32 v9, v7, v9
	v_add_co_u32_e32 v4, vcc, v4, v9
	v_mul_hi_u32 v11, v7, v10
	s_nop 0
	v_addc_co_u32_e32 v2, vcc, v5, v2, vcc
	v_mul_lo_u32 v4, v7, v10
	s_nop 0
	v_addc_co_u32_e32 v5, vcc, 0, v11, vcc
	v_lshl_add_u64 v[4:5], v[2:3], 0, v[4:5]
	v_add_co_u32_e32 v8, vcc, v8, v4
	v_mul_hi_u32 v4, s0, v8
	s_nop 0
	v_addc_co_u32_e32 v7, vcc, v7, v5, vcc
	v_mul_lo_u32 v2, s0, v7
	v_add_u32_e32 v2, v4, v2
	v_mul_lo_u32 v4, s1, v8
	v_add_u32_e32 v9, v2, v4
	v_mul_lo_u32 v2, s0, v8
	v_mul_hi_u32 v11, v7, v2
	v_mul_lo_u32 v12, v7, v2
	v_mul_hi_u32 v5, v8, v9
	;; [unrolled: 2-line block ×3, first 2 shown]
	v_lshl_add_u64 v[4:5], v[2:3], 0, v[4:5]
	v_add_co_u32_e32 v2, vcc, v4, v12
	v_mul_hi_u32 v10, v7, v9
	s_nop 0
	v_addc_co_u32_e32 v2, vcc, v5, v11, vcc
	v_mul_lo_u32 v4, v7, v9
	s_nop 0
	v_addc_co_u32_e32 v5, vcc, 0, v10, vcc
	v_lshl_add_u64 v[4:5], v[2:3], 0, v[4:5]
	v_add_co_u32_e32 v10, vcc, v8, v4
	v_ashrrev_i32_e32 v4, 31, v1
	s_nop 0
	v_addc_co_u32_e32 v7, vcc, v7, v5, vcc
	v_mov_b32_e32 v5, v4
	v_lshl_add_u64 v[0:1], v[0:1], 0, v[4:5]
	v_xor_b32_e32 v12, v0, v4
	v_xor_b32_e32 v5, v1, v4
	v_mad_u64_u32 v[0:1], s[0:1], v12, v7, 0
	v_mul_hi_u32 v2, v12, v10
	v_lshl_add_u64 v[0:1], v[2:3], 0, v[0:1]
	v_mad_u64_u32 v[10:11], s[0:1], v5, v10, 0
	v_add_co_u32_e32 v0, vcc, v0, v10
	v_mad_u64_u32 v[8:9], s[0:1], v5, v7, 0
	s_nop 0
	v_addc_co_u32_e32 v2, vcc, v1, v11, vcc
	s_nop 1
	v_addc_co_u32_e32 v9, vcc, 0, v9, vcc
	v_lshl_add_u64 v[0:1], v[2:3], 0, v[8:9]
	v_mul_lo_u32 v7, s9, v0
	v_mul_lo_u32 v8, s8, v1
	v_mad_u64_u32 v[2:3], s[0:1], s8, v0, 0
	v_add3_u32 v7, v3, v8, v7
	v_sub_u32_e32 v3, v5, v7
	v_mov_b32_e32 v8, s9
	v_sub_co_u32_e32 v10, vcc, v12, v2
	s_nop 1
	v_subb_co_u32_e64 v2, s[0:1], v3, v8, vcc
	v_subrev_co_u32_e64 v3, s[0:1], s8, v10
	v_subb_co_u32_e32 v5, vcc, v5, v7, vcc
	s_nop 0
	v_subbrev_co_u32_e64 v2, s[0:1], 0, v2, s[0:1]
	v_cmp_le_u32_e64 s[0:1], s9, v2
	v_cmp_le_u32_e32 vcc, s9, v5
	s_nop 0
	v_cndmask_b32_e64 v8, 0, -1, s[0:1]
	v_cmp_le_u32_e64 s[0:1], s8, v3
	v_cndmask_b32_e64 v7, 0, -1, vcc
	v_cmp_le_u32_e32 vcc, s8, v10
	v_cndmask_b32_e64 v3, 0, -1, s[0:1]
	v_cmp_eq_u32_e64 s[0:1], s9, v2
	s_nop 1
	v_cndmask_b32_e64 v11, v8, v3, s[0:1]
	v_lshl_add_u64 v[2:3], v[0:1], 0, 2
	v_lshl_add_u64 v[8:9], v[0:1], 0, 1
	v_cmp_ne_u32_e64 s[0:1], 0, v11
	s_nop 1
	v_cndmask_b32_e64 v3, v9, v3, s[0:1]
	v_cndmask_b32_e64 v9, 0, -1, vcc
	v_cmp_eq_u32_e32 vcc, s9, v5
	v_cndmask_b32_e64 v2, v8, v2, s[0:1]
                                        ; implicit-def: $vgpr8
	s_nop 0
	v_cndmask_b32_e32 v5, v7, v9, vcc
	v_cmp_ne_u32_e32 vcc, 0, v5
	s_nop 1
	v_cndmask_b32_e32 v1, v1, v3, vcc
	v_cndmask_b32_e32 v0, v0, v2, vcc
	v_xor_b32_e32 v3, s6, v4
	v_xor_b32_e32 v2, s7, v4
	;; [unrolled: 1-line block ×4, first 2 shown]
	v_sub_co_u32_e32 v4, vcc, v0, v3
	s_nop 1
	v_subb_co_u32_e32 v5, vcc, v1, v2, vcc
                                        ; implicit-def: $vgpr0_vgpr1
.LBB61_22:
	s_andn2_saveexec_b64 s[0:1], s[4:5]
	s_cbranch_execz .LBB61_24
; %bb.23:
	v_rcp_iflag_f32_e32 v1, v8
	s_sub_i32 s4, 0, s10
	v_mov_b32_e32 v5, 0
	v_mul_f32_e32 v1, 0x4f7ffffe, v1
	v_cvt_u32_f32_e32 v1, v1
	v_mul_lo_u32 v2, s4, v1
	v_mul_hi_u32 v2, v1, v2
	v_add_u32_e32 v1, v1, v2
	v_mul_hi_u32 v1, v0, v1
	v_mul_lo_u32 v2, v1, s10
	v_sub_u32_e32 v0, v0, v2
	v_add_u32_e32 v3, 1, v1
	v_subrev_u32_e32 v2, s10, v0
	v_cmp_le_u32_e32 vcc, s10, v0
	s_nop 1
	v_cndmask_b32_e32 v0, v0, v2, vcc
	v_cndmask_b32_e32 v1, v1, v3, vcc
	v_add_u32_e32 v2, 1, v1
	v_cmp_le_u32_e32 vcc, s10, v0
	s_nop 1
	v_cndmask_b32_e32 v4, v1, v2, vcc
.LBB61_24:
	s_or_b64 exec, exec, s[0:1]
	s_waitcnt lgkmcnt(0)
	v_lshl_add_u64 v[0:1], v[4:5], 2, s[2:3]
	s_waitcnt vmcnt(0)
	global_store_dword v[0:1], v6, off
.LBB61_25:
	s_endpgm
	.section	.rodata,"a",@progbits
	.p2align	6, 0x0
	.amdhsa_kernel _ZN4vllm38cp_gather_indexer_k_quant_cache_kernelILi2EEEvPKcPcS3_PKiS5_illllliii
		.amdhsa_group_segment_fixed_size 8
		.amdhsa_private_segment_fixed_size 0
		.amdhsa_kernarg_size 360
		.amdhsa_user_sgpr_count 2
		.amdhsa_user_sgpr_dispatch_ptr 0
		.amdhsa_user_sgpr_queue_ptr 0
		.amdhsa_user_sgpr_kernarg_segment_ptr 1
		.amdhsa_user_sgpr_dispatch_id 0
		.amdhsa_user_sgpr_kernarg_preload_length 0
		.amdhsa_user_sgpr_kernarg_preload_offset 0
		.amdhsa_user_sgpr_private_segment_size 0
		.amdhsa_uses_dynamic_stack 0
		.amdhsa_enable_private_segment 0
		.amdhsa_system_sgpr_workgroup_id_x 1
		.amdhsa_system_sgpr_workgroup_id_y 1
		.amdhsa_system_sgpr_workgroup_id_z 0
		.amdhsa_system_sgpr_workgroup_info 0
		.amdhsa_system_vgpr_workitem_id 1
		.amdhsa_next_free_vgpr 18
		.amdhsa_next_free_sgpr 26
		.amdhsa_accum_offset 20
		.amdhsa_reserve_vcc 1
		.amdhsa_float_round_mode_32 0
		.amdhsa_float_round_mode_16_64 0
		.amdhsa_float_denorm_mode_32 3
		.amdhsa_float_denorm_mode_16_64 3
		.amdhsa_dx10_clamp 1
		.amdhsa_ieee_mode 1
		.amdhsa_fp16_overflow 0
		.amdhsa_tg_split 0
		.amdhsa_exception_fp_ieee_invalid_op 0
		.amdhsa_exception_fp_denorm_src 0
		.amdhsa_exception_fp_ieee_div_zero 0
		.amdhsa_exception_fp_ieee_overflow 0
		.amdhsa_exception_fp_ieee_underflow 0
		.amdhsa_exception_fp_ieee_inexact 0
		.amdhsa_exception_int_div_zero 0
	.end_amdhsa_kernel
	.section	.text._ZN4vllm38cp_gather_indexer_k_quant_cache_kernelILi2EEEvPKcPcS3_PKiS5_illllliii,"axG",@progbits,_ZN4vllm38cp_gather_indexer_k_quant_cache_kernelILi2EEEvPKcPcS3_PKiS5_illllliii,comdat
.Lfunc_end61:
	.size	_ZN4vllm38cp_gather_indexer_k_quant_cache_kernelILi2EEEvPKcPcS3_PKiS5_illllliii, .Lfunc_end61-_ZN4vllm38cp_gather_indexer_k_quant_cache_kernelILi2EEEvPKcPcS3_PKiS5_illllliii
                                        ; -- End function
	.section	.AMDGPU.csdata,"",@progbits
; Kernel info:
; codeLenInByte = 3576
; NumSgprs: 32
; NumVgprs: 18
; NumAgprs: 0
; TotalNumVgprs: 18
; ScratchSize: 0
; MemoryBound: 0
; FloatMode: 240
; IeeeMode: 1
; LDSByteSize: 8 bytes/workgroup (compile time only)
; SGPRBlocks: 3
; VGPRBlocks: 2
; NumSGPRsForWavesPerEU: 32
; NumVGPRsForWavesPerEU: 18
; AccumOffset: 20
; Occupancy: 8
; WaveLimiterHint : 1
; COMPUTE_PGM_RSRC2:SCRATCH_EN: 0
; COMPUTE_PGM_RSRC2:USER_SGPR: 2
; COMPUTE_PGM_RSRC2:TRAP_HANDLER: 0
; COMPUTE_PGM_RSRC2:TGID_X_EN: 1
; COMPUTE_PGM_RSRC2:TGID_Y_EN: 1
; COMPUTE_PGM_RSRC2:TGID_Z_EN: 0
; COMPUTE_PGM_RSRC2:TIDIG_COMP_CNT: 1
; COMPUTE_PGM_RSRC3_GFX90A:ACCUM_OFFSET: 4
; COMPUTE_PGM_RSRC3_GFX90A:TG_SPLIT: 0
	.section	.text._ZN4vllm38cp_gather_indexer_k_quant_cache_kernelILi4EEEvPKcPcS3_PKiS5_illllliii,"axG",@progbits,_ZN4vllm38cp_gather_indexer_k_quant_cache_kernelILi4EEEvPKcPcS3_PKiS5_illllliii,comdat
	.protected	_ZN4vllm38cp_gather_indexer_k_quant_cache_kernelILi4EEEvPKcPcS3_PKiS5_illllliii ; -- Begin function _ZN4vllm38cp_gather_indexer_k_quant_cache_kernelILi4EEEvPKcPcS3_PKiS5_illllliii
	.globl	_ZN4vllm38cp_gather_indexer_k_quant_cache_kernelILi4EEEvPKcPcS3_PKiS5_illllliii
	.p2align	8
	.type	_ZN4vllm38cp_gather_indexer_k_quant_cache_kernelILi4EEEvPKcPcS3_PKiS5_illllliii,@function
_ZN4vllm38cp_gather_indexer_k_quant_cache_kernelILi4EEEvPKcPcS3_PKiS5_illllliii: ; @_ZN4vllm38cp_gather_indexer_k_quant_cache_kernelILi4EEEvPKcPcS3_PKiS5_illllliii
; %bb.0:
	s_load_dwordx2 s[6:7], s[0:1], 0x20
	s_load_dword s10, s[0:1], 0x74
	v_bfe_u32 v1, v0, 10, 10
	v_and_b32_e32 v5, 0x3ff, v0
	v_cmp_eq_u32_e64 s[4:5], 0, v5
	v_lshlrev_b32_e32 v4, 2, v1
	s_and_saveexec_b64 s[8:9], s[4:5]
	s_cbranch_execz .LBB62_2
; %bb.1:
	v_mov_b32_e32 v0, -1
	ds_write_b32 v4, v0
.LBB62_2:
	s_or_b64 exec, exec, s[8:9]
	s_waitcnt lgkmcnt(0)
	s_lshr_b32 s8, s10, 16
	s_and_b32 s10, s10, 0xffff
	v_cvt_f32_u32_e32 v0, s10
	s_load_dword s11, s[0:1], 0x28
	s_mul_i32 s2, s2, s8
	s_sub_i32 s9, 0, s10
	v_rcp_iflag_f32_e32 v0, v0
	v_add_u32_e32 v8, s2, v1
	s_waitcnt lgkmcnt(0)
	s_add_i32 s2, s11, s10
	s_add_i32 s2, s2, -1
	v_mul_f32_e32 v0, 0x4f7ffffe, v0
	v_cvt_u32_f32_e32 v0, v0
	s_ashr_i32 s8, s2, 31
	s_abs_i32 s2, s2
	v_readfirstlane_b32 s12, v0
	s_mul_i32 s9, s9, s12
	s_mul_hi_u32 s9, s12, s9
	s_add_i32 s12, s12, s9
	s_mul_hi_u32 s9, s2, s12
	s_mul_i32 s12, s9, s10
	s_sub_i32 s2, s2, s12
	s_add_i32 s12, s9, 1
	s_sub_i32 s13, s2, s10
	s_cmp_ge_u32 s2, s10
	s_cselect_b32 s9, s12, s9
	s_cselect_b32 s2, s13, s2
	s_add_i32 s12, s9, 1
	s_cmp_ge_u32 s2, s10
	s_cselect_b32 s2, s12, s9
	s_xor_b32 s2, s2, s8
	s_sub_i32 s2, s2, s8
	s_cmp_lt_i32 s2, 1
	s_barrier
	s_cbranch_scc1 .LBB62_9
; %bb.3:
	v_mov_b32_e32 v0, v5
	s_branch .LBB62_5
.LBB62_4:                               ;   in Loop: Header=BB62_5 Depth=1
	s_or_b64 exec, exec, s[8:9]
	s_add_i32 s2, s2, -1
	s_cmp_eq_u32 s2, 0
	v_add_u32_e32 v0, s10, v0
	s_cbranch_scc1 .LBB62_9
.LBB62_5:                               ; =>This Inner Loop Header: Depth=1
	v_cmp_gt_i32_e32 vcc, s11, v0
	s_and_saveexec_b64 s[8:9], vcc
	s_cbranch_execz .LBB62_4
; %bb.6:                                ;   in Loop: Header=BB62_5 Depth=1
	v_ashrrev_i32_e32 v1, 31, v0
	v_lshl_add_u64 v[2:3], v[0:1], 2, s[6:7]
	global_load_dword v1, v[2:3], off
	s_waitcnt vmcnt(0)
	v_cmp_ge_i32_e32 vcc, v8, v1
	s_and_b64 exec, exec, vcc
	s_cbranch_execz .LBB62_4
; %bb.7:                                ;   in Loop: Header=BB62_5 Depth=1
	global_load_dword v1, v[2:3], off offset:4
	s_waitcnt vmcnt(0)
	v_cmp_lt_i32_e32 vcc, v8, v1
	s_and_b64 exec, exec, vcc
	s_cbranch_execz .LBB62_4
; %bb.8:                                ;   in Loop: Header=BB62_5 Depth=1
	ds_write_b32 v4, v0
	s_branch .LBB62_4
.LBB62_9:
	s_load_dwordx4 s[12:15], s[0:1], 0x30
	s_mul_i32 s3, s3, s10
	v_add_lshl_u32 v0, s3, v5, 4
	v_ashrrev_i32_e32 v1, 31, v0
	s_waitcnt lgkmcnt(0)
	v_cmp_gt_i64_e32 vcc, s[14:15], v[0:1]
	s_barrier
	s_and_saveexec_b64 s[2:3], vcc
	s_cbranch_execz .LBB62_25
; %bb.10:
	s_load_dwordx4 s[8:11], s[0:1], 0x58
	ds_read_b32 v2, v4
	s_waitcnt lgkmcnt(0)
	v_cmp_gt_i32_e32 vcc, s9, v8
	v_cmp_lt_i32_e64 s[2:3], -1, v2
	s_and_b64 s[2:3], vcc, s[2:3]
	s_and_b64 exec, exec, s[2:3]
	s_cbranch_execz .LBB62_25
; %bb.11:
	v_mov_b32_e32 v3, 0
	v_lshl_add_u64 v[4:5], v[2:3], 2, s[6:7]
	global_load_dword v4, v[4:5], off
	s_load_dwordx2 s[6:7], s[0:1], 0x50
	s_load_dwordx2 s[22:23], s[0:1], 0x18
	;; [unrolled: 1-line block ×3, first 2 shown]
	v_mov_b32_e32 v6, v3
	s_waitcnt vmcnt(0)
	v_sub_u32_e32 v4, v8, v4
	v_ashrrev_i32_e32 v5, 31, v4
	s_waitcnt lgkmcnt(0)
	v_or_b32_e32 v7, s7, v5
	v_cmp_ne_u64_e32 vcc, 0, v[6:7]
                                        ; implicit-def: $vgpr6_vgpr7
	s_and_saveexec_b64 s[2:3], vcc
	s_xor_b64 s[16:17], exec, s[2:3]
	s_cbranch_execz .LBB62_13
; %bb.12:
	s_ashr_i32 s18, s7, 31
	s_add_u32 s2, s6, s18
	s_mov_b32 s19, s18
	s_addc_u32 s3, s7, s18
	s_xor_b64 s[24:25], s[2:3], s[18:19]
	v_cvt_f32_u32_e32 v6, s24
	v_cvt_f32_u32_e32 v7, s25
	s_sub_u32 s2, 0, s24
	s_subb_u32 s3, 0, s25
	v_mov_b32_e32 v11, v3
	v_fmamk_f32 v6, v7, 0x4f800000, v6
	v_rcp_f32_e32 v6, v6
	s_nop 0
	v_mul_f32_e32 v6, 0x5f7ffffc, v6
	v_mul_f32_e32 v7, 0x2f800000, v6
	v_trunc_f32_e32 v7, v7
	v_fmamk_f32 v6, v7, 0xcf800000, v6
	v_cvt_u32_f32_e32 v9, v7
	v_cvt_u32_f32_e32 v12, v6
	v_mul_lo_u32 v6, s2, v9
	v_mul_hi_u32 v10, s2, v12
	v_mul_lo_u32 v7, s3, v12
	v_add_u32_e32 v6, v10, v6
	v_mul_lo_u32 v13, s2, v12
	v_add_u32_e32 v14, v6, v7
	v_mul_hi_u32 v7, v12, v14
	v_mul_lo_u32 v6, v12, v14
	v_mul_hi_u32 v10, v12, v13
	v_lshl_add_u64 v[6:7], v[10:11], 0, v[6:7]
	v_mul_hi_u32 v11, v9, v13
	v_mul_lo_u32 v13, v9, v13
	v_add_co_u32_e32 v6, vcc, v6, v13
	v_mul_hi_u32 v10, v9, v14
	s_nop 0
	v_addc_co_u32_e32 v6, vcc, v7, v11, vcc
	v_mov_b32_e32 v7, v3
	s_nop 0
	v_addc_co_u32_e32 v11, vcc, 0, v10, vcc
	v_mul_lo_u32 v10, v9, v14
	v_lshl_add_u64 v[6:7], v[6:7], 0, v[10:11]
	v_add_co_u32_e32 v12, vcc, v12, v6
	v_mul_lo_u32 v10, s2, v12
	s_nop 0
	v_addc_co_u32_e32 v9, vcc, v9, v7, vcc
	v_mul_lo_u32 v6, s2, v9
	v_mul_hi_u32 v7, s2, v12
	v_add_u32_e32 v6, v7, v6
	v_mul_lo_u32 v7, s3, v12
	v_add_u32_e32 v13, v6, v7
	v_mul_hi_u32 v15, v9, v10
	v_mul_lo_u32 v16, v9, v10
	v_mul_hi_u32 v7, v12, v13
	v_mul_lo_u32 v6, v12, v13
	v_mul_hi_u32 v10, v12, v10
	v_mov_b32_e32 v11, v3
	v_lshl_add_u64 v[6:7], v[10:11], 0, v[6:7]
	v_add_co_u32_e32 v6, vcc, v6, v16
	v_mul_hi_u32 v14, v9, v13
	s_nop 0
	v_addc_co_u32_e32 v6, vcc, v7, v15, vcc
	v_mul_lo_u32 v10, v9, v13
	s_nop 0
	v_addc_co_u32_e32 v11, vcc, 0, v14, vcc
	v_mov_b32_e32 v7, v3
	v_lshl_add_u64 v[6:7], v[6:7], 0, v[10:11]
	v_add_co_u32_e32 v14, vcc, v12, v6
	v_mov_b32_e32 v6, v5
	s_nop 0
	v_addc_co_u32_e32 v9, vcc, v9, v7, vcc
	v_mov_b32_e32 v7, v5
	v_lshl_add_u64 v[10:11], v[4:5], 0, v[6:7]
	v_xor_b32_e32 v17, v10, v6
	v_xor_b32_e32 v16, v11, v7
	v_mad_u64_u32 v[10:11], s[2:3], v17, v9, 0
	v_mul_hi_u32 v12, v17, v14
	v_mov_b32_e32 v13, v3
	v_lshl_add_u64 v[10:11], v[12:13], 0, v[10:11]
	v_mad_u64_u32 v[14:15], s[2:3], v16, v14, 0
	v_mad_u64_u32 v[12:13], s[2:3], v16, v9, 0
	v_add_co_u32_e32 v9, vcc, v10, v14
	v_xor_b32_e32 v6, s18, v6
	s_nop 0
	v_addc_co_u32_e32 v10, vcc, v11, v15, vcc
	v_mov_b32_e32 v11, v3
	s_nop 0
	v_addc_co_u32_e32 v13, vcc, 0, v13, vcc
	v_lshl_add_u64 v[10:11], v[10:11], 0, v[12:13]
	v_mul_lo_u32 v3, s25, v10
	v_mul_lo_u32 v9, s24, v11
	v_mad_u64_u32 v[12:13], s[2:3], s24, v10, 0
	v_add3_u32 v3, v13, v9, v3
	v_sub_u32_e32 v9, v16, v3
	v_mov_b32_e32 v13, s25
	v_sub_co_u32_e32 v17, vcc, v17, v12
	v_lshl_add_u64 v[14:15], v[10:11], 0, 1
	s_nop 0
	v_subb_co_u32_e64 v9, s[2:3], v9, v13, vcc
	v_subrev_co_u32_e64 v12, s[2:3], s24, v17
	v_subb_co_u32_e32 v3, vcc, v16, v3, vcc
	s_nop 0
	v_subbrev_co_u32_e64 v9, s[2:3], 0, v9, s[2:3]
	v_cmp_le_u32_e64 s[2:3], s25, v9
	v_cmp_le_u32_e32 vcc, s25, v3
	v_xor_b32_e32 v7, s18, v7
	v_cndmask_b32_e64 v13, 0, -1, s[2:3]
	v_cmp_le_u32_e64 s[2:3], s24, v12
	s_nop 1
	v_cndmask_b32_e64 v12, 0, -1, s[2:3]
	v_cmp_eq_u32_e64 s[2:3], s25, v9
	s_nop 1
	v_cndmask_b32_e64 v9, v13, v12, s[2:3]
	v_lshl_add_u64 v[12:13], v[10:11], 0, 2
	v_cmp_ne_u32_e64 s[2:3], 0, v9
	s_nop 1
	v_cndmask_b32_e64 v9, v15, v13, s[2:3]
	v_cndmask_b32_e64 v13, 0, -1, vcc
	v_cmp_le_u32_e32 vcc, s24, v17
	s_nop 1
	v_cndmask_b32_e64 v15, 0, -1, vcc
	v_cmp_eq_u32_e32 vcc, s25, v3
	s_nop 1
	v_cndmask_b32_e32 v3, v13, v15, vcc
	v_cmp_ne_u32_e32 vcc, 0, v3
	s_nop 1
	v_cndmask_b32_e32 v3, v11, v9, vcc
	v_cndmask_b32_e64 v9, v14, v12, s[2:3]
	v_cndmask_b32_e32 v9, v10, v9, vcc
	v_xor_b32_e32 v9, v9, v6
	v_xor_b32_e32 v3, v3, v7
	v_sub_co_u32_e32 v6, vcc, v9, v6
	s_nop 1
	v_subb_co_u32_e32 v7, vcc, v3, v7, vcc
.LBB62_13:
	s_or_saveexec_b64 s[2:3], s[16:17]
	s_load_dwordx4 s[16:19], s[0:1], 0x0
	s_xor_b64 exec, exec, s[2:3]
	s_cbranch_execz .LBB62_15
; %bb.14:
	v_cvt_f32_u32_e32 v3, s6
	s_sub_i32 s9, 0, s6
	v_rcp_iflag_f32_e32 v3, v3
	s_nop 0
	v_mul_f32_e32 v3, 0x4f7ffffe, v3
	v_cvt_u32_f32_e32 v3, v3
	v_mul_lo_u32 v6, s9, v3
	v_mul_hi_u32 v6, v3, v6
	v_add_u32_e32 v3, v3, v6
	v_mul_hi_u32 v3, v4, v3
	v_mul_lo_u32 v6, v3, s6
	v_sub_u32_e32 v6, v4, v6
	v_add_u32_e32 v7, 1, v3
	v_subrev_u32_e32 v9, s6, v6
	v_cmp_le_u32_e32 vcc, s6, v6
	s_nop 1
	v_cndmask_b32_e32 v6, v6, v9, vcc
	v_cndmask_b32_e32 v3, v3, v7, vcc
	v_add_u32_e32 v7, 1, v3
	v_cmp_le_u32_e32 vcc, s6, v6
	s_nop 1
	v_cndmask_b32_e32 v6, v3, v7, vcc
	v_mov_b32_e32 v7, 0
.LBB62_15:
	s_or_b64 exec, exec, s[2:3]
	v_mul_lo_u32 v2, v2, s8
	v_ashrrev_i32_e32 v3, 31, v2
	v_lshl_add_u64 v[10:11], v[6:7], 2, s[22:23]
	v_lshl_add_u64 v[2:3], v[2:3], 2, v[10:11]
	global_load_dword v2, v[2:3], off
	v_mul_lo_u32 v3, v7, s6
	v_mul_lo_u32 v9, v6, s7
	v_mad_u64_u32 v[6:7], s[2:3], v6, s6, 0
	v_add3_u32 v3, v7, v9, v3
	v_sub_co_u32_e32 v4, vcc, v4, v6
	v_mul_lo_u32 v6, v4, s15
	s_nop 0
	v_subb_co_u32_e32 v3, vcc, v5, v3, vcc
	v_mad_u64_u32 v[4:5], s[2:3], v4, s14, v[0:1]
	v_mul_lo_u32 v3, v3, s14
	v_add3_u32 v5, v3, v5, v6
	v_mov_b32_e32 v7, 0
	v_mad_u64_u32 v[0:1], s[2:3], v8, s12, v[0:1]
	s_waitcnt vmcnt(0)
	v_ashrrev_i32_e32 v3, 31, v2
	v_mul_lo_u32 v9, v2, s21
	v_mad_u64_u32 v[12:13], s[2:3], v2, s20, v[4:5]
	v_mul_lo_u32 v10, v3, s20
	v_add3_u32 v13, v10, v13, v9
	v_ashrrev_i32_e32 v3, 31, v13
	v_lshrrev_b32_e32 v6, 28, v3
	v_lshl_add_u64 v[12:13], v[12:13], 0, v[6:7]
	v_and_b32_e32 v12, -16, v12
	s_waitcnt lgkmcnt(0)
	v_lshl_add_u64 v[12:13], s[16:17], 0, v[12:13]
	global_load_dwordx4 v[12:15], v[12:13], off
	v_ashrrev_i32_e32 v3, 31, v8
	v_mul_lo_u32 v6, v8, s13
	v_mul_lo_u32 v3, v3, s12
	v_add3_u32 v1, v3, v1, v6
	v_ashrrev_i32_e32 v3, 31, v1
	v_lshrrev_b32_e32 v6, 28, v3
	v_lshl_add_u64 v[16:17], v[0:1], 0, v[6:7]
	v_and_b32_e32 v16, -16, v16
	v_lshl_add_u64 v[16:17], s[18:19], 0, v[16:17]
	s_waitcnt vmcnt(0)
	global_store_dwordx4 v[16:17], v[12:15], off
	s_and_b64 exec, exec, s[4:5]
	s_cbranch_execz .LBB62_25
; %bb.16:
	v_mad_u64_u32 v[2:3], s[2:3], v2, s20, 0
	v_lshlrev_b64 v[4:5], 2, v[4:5]
	s_ashr_i32 s11, s10, 31
	v_add3_u32 v3, v3, v9, v10
	v_or_b32_e32 v9, s11, v5
	v_mov_b32_e32 v8, v7
	v_cmp_ne_u64_e32 vcc, 0, v[8:9]
                                        ; implicit-def: $vgpr6_vgpr7
	s_and_saveexec_b64 s[2:3], vcc
	s_xor_b64 s[4:5], exec, s[2:3]
	s_cbranch_execz .LBB62_18
; %bb.17:
	s_add_u32 s2, s10, s11
	s_mov_b32 s8, s11
	s_mov_b32 s9, s11
	s_addc_u32 s3, s11, s11
	s_xor_b64 s[12:13], s[2:3], s[8:9]
	v_cvt_f32_u32_e32 v6, s12
	v_cvt_f32_u32_e32 v7, s13
	s_sub_u32 s2, 0, s12
	s_subb_u32 s3, 0, s13
	v_mov_b32_e32 v9, 0
	v_fmamk_f32 v6, v7, 0x4f800000, v6
	v_rcp_f32_e32 v6, v6
	s_nop 0
	v_mul_f32_e32 v6, 0x5f7ffffc, v6
	v_mul_f32_e32 v7, 0x2f800000, v6
	v_trunc_f32_e32 v7, v7
	v_fmamk_f32 v6, v7, 0xcf800000, v6
	v_cvt_u32_f32_e32 v10, v7
	v_cvt_u32_f32_e32 v11, v6
	v_mul_lo_u32 v6, s2, v10
	v_mul_hi_u32 v8, s2, v11
	v_mul_lo_u32 v7, s3, v11
	v_add_u32_e32 v6, v8, v6
	v_mul_lo_u32 v12, s2, v11
	v_add_u32_e32 v13, v6, v7
	v_mul_hi_u32 v7, v11, v13
	v_mul_lo_u32 v6, v11, v13
	v_mul_hi_u32 v8, v11, v12
	v_lshl_add_u64 v[6:7], v[8:9], 0, v[6:7]
	v_mul_hi_u32 v8, v10, v12
	v_mul_lo_u32 v12, v10, v12
	v_add_co_u32_e32 v6, vcc, v6, v12
	v_mul_hi_u32 v14, v10, v13
	s_nop 0
	v_addc_co_u32_e32 v8, vcc, v7, v8, vcc
	v_mul_lo_u32 v6, v10, v13
	s_nop 0
	v_addc_co_u32_e32 v7, vcc, 0, v14, vcc
	v_lshl_add_u64 v[6:7], v[8:9], 0, v[6:7]
	v_add_co_u32_e32 v11, vcc, v11, v6
	v_mul_lo_u32 v8, s2, v11
	s_nop 0
	v_addc_co_u32_e32 v10, vcc, v10, v7, vcc
	v_mul_lo_u32 v6, s2, v10
	v_mul_hi_u32 v7, s2, v11
	v_add_u32_e32 v6, v7, v6
	v_mul_lo_u32 v7, s3, v11
	v_add_u32_e32 v12, v6, v7
	v_mul_hi_u32 v14, v10, v8
	v_mul_lo_u32 v15, v10, v8
	v_mul_hi_u32 v7, v11, v12
	v_mul_lo_u32 v6, v11, v12
	v_mul_hi_u32 v8, v11, v8
	v_lshl_add_u64 v[6:7], v[8:9], 0, v[6:7]
	v_add_co_u32_e32 v6, vcc, v6, v15
	v_mul_hi_u32 v13, v10, v12
	s_nop 0
	v_addc_co_u32_e32 v8, vcc, v7, v14, vcc
	v_mul_lo_u32 v6, v10, v12
	s_nop 0
	v_addc_co_u32_e32 v7, vcc, 0, v13, vcc
	v_lshl_add_u64 v[6:7], v[8:9], 0, v[6:7]
	v_add_co_u32_e32 v12, vcc, v11, v6
	v_ashrrev_i32_e32 v6, 31, v5
	s_nop 0
	v_addc_co_u32_e32 v10, vcc, v10, v7, vcc
	v_mov_b32_e32 v7, v6
	v_lshl_add_u64 v[4:5], v[4:5], 0, v[6:7]
	v_xor_b32_e32 v14, v4, v6
	v_xor_b32_e32 v7, v5, v6
	v_mad_u64_u32 v[4:5], s[2:3], v14, v10, 0
	v_mul_hi_u32 v8, v14, v12
	v_lshl_add_u64 v[4:5], v[8:9], 0, v[4:5]
	v_mad_u64_u32 v[12:13], s[2:3], v7, v12, 0
	v_add_co_u32_e32 v4, vcc, v4, v12
	v_mad_u64_u32 v[10:11], s[2:3], v7, v10, 0
	s_nop 0
	v_addc_co_u32_e32 v8, vcc, v5, v13, vcc
	s_nop 1
	v_addc_co_u32_e32 v11, vcc, 0, v11, vcc
	v_lshl_add_u64 v[4:5], v[8:9], 0, v[10:11]
	v_mul_lo_u32 v10, s13, v4
	v_mul_lo_u32 v11, s12, v5
	v_mad_u64_u32 v[8:9], s[2:3], s12, v4, 0
	v_add3_u32 v12, v9, v11, v10
	v_sub_u32_e32 v9, v7, v12
	v_mov_b32_e32 v10, s13
	v_sub_co_u32_e32 v13, vcc, v14, v8
	s_nop 1
	v_subb_co_u32_e64 v8, s[2:3], v9, v10, vcc
	v_subrev_co_u32_e64 v9, s[2:3], s12, v13
	v_subb_co_u32_e32 v7, vcc, v7, v12, vcc
	s_nop 0
	v_subbrev_co_u32_e64 v8, s[2:3], 0, v8, s[2:3]
	v_cmp_le_u32_e64 s[2:3], s13, v8
	v_cmp_le_u32_e32 vcc, s13, v7
	s_nop 0
	v_cndmask_b32_e64 v10, 0, -1, s[2:3]
	v_cmp_le_u32_e64 s[2:3], s12, v9
	s_nop 1
	v_cndmask_b32_e64 v9, 0, -1, s[2:3]
	v_cmp_eq_u32_e64 s[2:3], s13, v8
	s_nop 1
	v_cndmask_b32_e64 v14, v10, v9, s[2:3]
	v_lshl_add_u64 v[8:9], v[4:5], 0, 2
	v_lshl_add_u64 v[10:11], v[4:5], 0, 1
	v_cmp_ne_u32_e64 s[2:3], 0, v14
	s_nop 1
	v_cndmask_b32_e64 v9, v11, v9, s[2:3]
	v_cndmask_b32_e64 v11, 0, -1, vcc
	v_cmp_le_u32_e32 vcc, s12, v13
	s_nop 1
	v_cndmask_b32_e64 v12, 0, -1, vcc
	v_cmp_eq_u32_e32 vcc, s13, v7
	s_nop 1
	v_cndmask_b32_e32 v7, v11, v12, vcc
	v_cmp_ne_u32_e32 vcc, 0, v7
	v_cndmask_b32_e64 v7, v10, v8, s[2:3]
	s_nop 0
	v_cndmask_b32_e32 v4, v4, v7, vcc
	v_xor_b32_e32 v7, s9, v6
	v_xor_b32_e32 v6, s8, v6
	v_cndmask_b32_e32 v5, v5, v9, vcc
	v_xor_b32_e32 v4, v4, v6
	v_xor_b32_e32 v5, v5, v7
	v_sub_co_u32_e32 v6, vcc, v4, v6
	s_nop 1
	v_subb_co_u32_e32 v7, vcc, v5, v7, vcc
                                        ; implicit-def: $vgpr4_vgpr5
.LBB62_18:
	s_or_saveexec_b64 s[2:3], s[4:5]
	v_cvt_f32_u32_e32 v8, s10
	s_xor_b64 exec, exec, s[2:3]
	s_cbranch_execz .LBB62_20
; %bb.19:
	v_rcp_iflag_f32_e32 v5, v8
	s_sub_i32 s4, 0, s10
	v_mul_f32_e32 v5, 0x4f7ffffe, v5
	v_cvt_u32_f32_e32 v5, v5
	v_mul_lo_u32 v6, s4, v5
	v_mul_hi_u32 v6, v5, v6
	v_add_u32_e32 v5, v5, v6
	v_mul_hi_u32 v5, v4, v5
	v_mul_lo_u32 v6, v5, s10
	v_sub_u32_e32 v4, v4, v6
	v_add_u32_e32 v7, 1, v5
	v_subrev_u32_e32 v6, s10, v4
	v_cmp_le_u32_e32 vcc, s10, v4
	s_nop 1
	v_cndmask_b32_e32 v4, v4, v6, vcc
	v_cndmask_b32_e32 v5, v5, v7, vcc
	v_add_u32_e32 v6, 1, v5
	v_cmp_le_u32_e32 vcc, s10, v4
	v_mov_b32_e32 v7, 0
	s_nop 0
	v_cndmask_b32_e32 v6, v5, v6, vcc
.LBB62_20:
	s_or_b64 exec, exec, s[2:3]
	s_mul_i32 s2, s7, s14
	s_mul_i32 s3, s6, s15
	v_mov_b32_e32 v4, s14
	s_add_i32 s4, s3, s2
	v_mad_u64_u32 v[2:3], s[2:3], s6, v4, v[2:3]
	v_add_u32_e32 v3, s4, v3
	v_lshl_add_u64 v[4:5], v[2:3], 0, v[6:7]
	v_ashrrev_i32_e32 v2, 31, v5
	v_lshrrev_b32_e32 v2, 30, v2
	v_mov_b32_e32 v3, 0
	v_lshl_add_u64 v[4:5], v[4:5], 0, v[2:3]
	v_and_b32_e32 v4, -4, v4
	v_lshl_add_u64 v[4:5], s[16:17], 0, v[4:5]
	global_load_dword v6, v[4:5], off
	s_load_dwordx2 s[2:3], s[0:1], 0x10
	v_or_b32_e32 v5, s11, v1
	v_mov_b32_e32 v4, v3
	v_cmp_ne_u64_e32 vcc, 0, v[4:5]
                                        ; implicit-def: $vgpr4_vgpr5
	s_and_saveexec_b64 s[0:1], vcc
	s_xor_b64 s[4:5], exec, s[0:1]
	s_cbranch_execz .LBB62_22
; %bb.21:
	s_add_u32 s0, s10, s11
	s_mov_b32 s6, s11
	s_mov_b32 s7, s11
	s_addc_u32 s1, s11, s11
	s_xor_b64 s[8:9], s[0:1], s[6:7]
	v_cvt_f32_u32_e32 v2, s8
	v_cvt_f32_u32_e32 v4, s9
	s_sub_u32 s0, 0, s8
	s_subb_u32 s1, 0, s9
	v_fmamk_f32 v2, v4, 0x4f800000, v2
	v_rcp_f32_e32 v2, v2
	s_nop 0
	v_mul_f32_e32 v2, 0x5f7ffffc, v2
	v_mul_f32_e32 v4, 0x2f800000, v2
	v_trunc_f32_e32 v4, v4
	v_fmamk_f32 v2, v4, 0xcf800000, v2
	v_cvt_u32_f32_e32 v7, v4
	v_cvt_u32_f32_e32 v8, v2
	v_mul_lo_u32 v2, s0, v7
	v_mul_hi_u32 v5, s0, v8
	v_mul_lo_u32 v4, s1, v8
	v_add_u32_e32 v2, v5, v2
	v_mul_lo_u32 v9, s0, v8
	v_add_u32_e32 v10, v2, v4
	v_mul_hi_u32 v5, v8, v10
	v_mul_lo_u32 v4, v8, v10
	v_mul_hi_u32 v2, v8, v9
	v_lshl_add_u64 v[4:5], v[2:3], 0, v[4:5]
	v_mul_hi_u32 v2, v7, v9
	v_mul_lo_u32 v9, v7, v9
	v_add_co_u32_e32 v4, vcc, v4, v9
	v_mul_hi_u32 v11, v7, v10
	s_nop 0
	v_addc_co_u32_e32 v2, vcc, v5, v2, vcc
	v_mul_lo_u32 v4, v7, v10
	s_nop 0
	v_addc_co_u32_e32 v5, vcc, 0, v11, vcc
	v_lshl_add_u64 v[4:5], v[2:3], 0, v[4:5]
	v_add_co_u32_e32 v8, vcc, v8, v4
	v_mul_hi_u32 v4, s0, v8
	s_nop 0
	v_addc_co_u32_e32 v7, vcc, v7, v5, vcc
	v_mul_lo_u32 v2, s0, v7
	v_add_u32_e32 v2, v4, v2
	v_mul_lo_u32 v4, s1, v8
	v_add_u32_e32 v9, v2, v4
	v_mul_lo_u32 v2, s0, v8
	v_mul_hi_u32 v11, v7, v2
	v_mul_lo_u32 v12, v7, v2
	v_mul_hi_u32 v5, v8, v9
	;; [unrolled: 2-line block ×3, first 2 shown]
	v_lshl_add_u64 v[4:5], v[2:3], 0, v[4:5]
	v_add_co_u32_e32 v2, vcc, v4, v12
	v_mul_hi_u32 v10, v7, v9
	s_nop 0
	v_addc_co_u32_e32 v2, vcc, v5, v11, vcc
	v_mul_lo_u32 v4, v7, v9
	s_nop 0
	v_addc_co_u32_e32 v5, vcc, 0, v10, vcc
	v_lshl_add_u64 v[4:5], v[2:3], 0, v[4:5]
	v_add_co_u32_e32 v10, vcc, v8, v4
	v_ashrrev_i32_e32 v4, 31, v1
	s_nop 0
	v_addc_co_u32_e32 v7, vcc, v7, v5, vcc
	v_mov_b32_e32 v5, v4
	v_lshl_add_u64 v[0:1], v[0:1], 0, v[4:5]
	v_xor_b32_e32 v12, v0, v4
	v_xor_b32_e32 v5, v1, v4
	v_mad_u64_u32 v[0:1], s[0:1], v12, v7, 0
	v_mul_hi_u32 v2, v12, v10
	v_lshl_add_u64 v[0:1], v[2:3], 0, v[0:1]
	v_mad_u64_u32 v[10:11], s[0:1], v5, v10, 0
	v_add_co_u32_e32 v0, vcc, v0, v10
	v_mad_u64_u32 v[8:9], s[0:1], v5, v7, 0
	s_nop 0
	v_addc_co_u32_e32 v2, vcc, v1, v11, vcc
	s_nop 1
	v_addc_co_u32_e32 v9, vcc, 0, v9, vcc
	v_lshl_add_u64 v[0:1], v[2:3], 0, v[8:9]
	v_mul_lo_u32 v7, s9, v0
	v_mul_lo_u32 v8, s8, v1
	v_mad_u64_u32 v[2:3], s[0:1], s8, v0, 0
	v_add3_u32 v7, v3, v8, v7
	v_sub_u32_e32 v3, v5, v7
	v_mov_b32_e32 v8, s9
	v_sub_co_u32_e32 v10, vcc, v12, v2
	s_nop 1
	v_subb_co_u32_e64 v2, s[0:1], v3, v8, vcc
	v_subrev_co_u32_e64 v3, s[0:1], s8, v10
	v_subb_co_u32_e32 v5, vcc, v5, v7, vcc
	s_nop 0
	v_subbrev_co_u32_e64 v2, s[0:1], 0, v2, s[0:1]
	v_cmp_le_u32_e64 s[0:1], s9, v2
	v_cmp_le_u32_e32 vcc, s9, v5
	s_nop 0
	v_cndmask_b32_e64 v8, 0, -1, s[0:1]
	v_cmp_le_u32_e64 s[0:1], s8, v3
	v_cndmask_b32_e64 v7, 0, -1, vcc
	v_cmp_le_u32_e32 vcc, s8, v10
	v_cndmask_b32_e64 v3, 0, -1, s[0:1]
	v_cmp_eq_u32_e64 s[0:1], s9, v2
	s_nop 1
	v_cndmask_b32_e64 v11, v8, v3, s[0:1]
	v_lshl_add_u64 v[2:3], v[0:1], 0, 2
	v_lshl_add_u64 v[8:9], v[0:1], 0, 1
	v_cmp_ne_u32_e64 s[0:1], 0, v11
	s_nop 1
	v_cndmask_b32_e64 v3, v9, v3, s[0:1]
	v_cndmask_b32_e64 v9, 0, -1, vcc
	v_cmp_eq_u32_e32 vcc, s9, v5
	v_cndmask_b32_e64 v2, v8, v2, s[0:1]
                                        ; implicit-def: $vgpr8
	s_nop 0
	v_cndmask_b32_e32 v5, v7, v9, vcc
	v_cmp_ne_u32_e32 vcc, 0, v5
	s_nop 1
	v_cndmask_b32_e32 v1, v1, v3, vcc
	v_cndmask_b32_e32 v0, v0, v2, vcc
	v_xor_b32_e32 v3, s6, v4
	v_xor_b32_e32 v2, s7, v4
	;; [unrolled: 1-line block ×4, first 2 shown]
	v_sub_co_u32_e32 v4, vcc, v0, v3
	s_nop 1
	v_subb_co_u32_e32 v5, vcc, v1, v2, vcc
                                        ; implicit-def: $vgpr0_vgpr1
.LBB62_22:
	s_andn2_saveexec_b64 s[0:1], s[4:5]
	s_cbranch_execz .LBB62_24
; %bb.23:
	v_rcp_iflag_f32_e32 v1, v8
	s_sub_i32 s4, 0, s10
	v_mov_b32_e32 v5, 0
	v_mul_f32_e32 v1, 0x4f7ffffe, v1
	v_cvt_u32_f32_e32 v1, v1
	v_mul_lo_u32 v2, s4, v1
	v_mul_hi_u32 v2, v1, v2
	v_add_u32_e32 v1, v1, v2
	v_mul_hi_u32 v1, v0, v1
	v_mul_lo_u32 v2, v1, s10
	v_sub_u32_e32 v0, v0, v2
	v_add_u32_e32 v3, 1, v1
	v_subrev_u32_e32 v2, s10, v0
	v_cmp_le_u32_e32 vcc, s10, v0
	s_nop 1
	v_cndmask_b32_e32 v0, v0, v2, vcc
	v_cndmask_b32_e32 v1, v1, v3, vcc
	v_add_u32_e32 v2, 1, v1
	v_cmp_le_u32_e32 vcc, s10, v0
	s_nop 1
	v_cndmask_b32_e32 v4, v1, v2, vcc
.LBB62_24:
	s_or_b64 exec, exec, s[0:1]
	s_waitcnt lgkmcnt(0)
	v_lshl_add_u64 v[0:1], v[4:5], 2, s[2:3]
	s_waitcnt vmcnt(0)
	global_store_dword v[0:1], v6, off
.LBB62_25:
	s_endpgm
	.section	.rodata,"a",@progbits
	.p2align	6, 0x0
	.amdhsa_kernel _ZN4vllm38cp_gather_indexer_k_quant_cache_kernelILi4EEEvPKcPcS3_PKiS5_illllliii
		.amdhsa_group_segment_fixed_size 16
		.amdhsa_private_segment_fixed_size 0
		.amdhsa_kernarg_size 360
		.amdhsa_user_sgpr_count 2
		.amdhsa_user_sgpr_dispatch_ptr 0
		.amdhsa_user_sgpr_queue_ptr 0
		.amdhsa_user_sgpr_kernarg_segment_ptr 1
		.amdhsa_user_sgpr_dispatch_id 0
		.amdhsa_user_sgpr_kernarg_preload_length 0
		.amdhsa_user_sgpr_kernarg_preload_offset 0
		.amdhsa_user_sgpr_private_segment_size 0
		.amdhsa_uses_dynamic_stack 0
		.amdhsa_enable_private_segment 0
		.amdhsa_system_sgpr_workgroup_id_x 1
		.amdhsa_system_sgpr_workgroup_id_y 1
		.amdhsa_system_sgpr_workgroup_id_z 0
		.amdhsa_system_sgpr_workgroup_info 0
		.amdhsa_system_vgpr_workitem_id 1
		.amdhsa_next_free_vgpr 18
		.amdhsa_next_free_sgpr 26
		.amdhsa_accum_offset 20
		.amdhsa_reserve_vcc 1
		.amdhsa_float_round_mode_32 0
		.amdhsa_float_round_mode_16_64 0
		.amdhsa_float_denorm_mode_32 3
		.amdhsa_float_denorm_mode_16_64 3
		.amdhsa_dx10_clamp 1
		.amdhsa_ieee_mode 1
		.amdhsa_fp16_overflow 0
		.amdhsa_tg_split 0
		.amdhsa_exception_fp_ieee_invalid_op 0
		.amdhsa_exception_fp_denorm_src 0
		.amdhsa_exception_fp_ieee_div_zero 0
		.amdhsa_exception_fp_ieee_overflow 0
		.amdhsa_exception_fp_ieee_underflow 0
		.amdhsa_exception_fp_ieee_inexact 0
		.amdhsa_exception_int_div_zero 0
	.end_amdhsa_kernel
	.section	.text._ZN4vllm38cp_gather_indexer_k_quant_cache_kernelILi4EEEvPKcPcS3_PKiS5_illllliii,"axG",@progbits,_ZN4vllm38cp_gather_indexer_k_quant_cache_kernelILi4EEEvPKcPcS3_PKiS5_illllliii,comdat
.Lfunc_end62:
	.size	_ZN4vllm38cp_gather_indexer_k_quant_cache_kernelILi4EEEvPKcPcS3_PKiS5_illllliii, .Lfunc_end62-_ZN4vllm38cp_gather_indexer_k_quant_cache_kernelILi4EEEvPKcPcS3_PKiS5_illllliii
                                        ; -- End function
	.section	.AMDGPU.csdata,"",@progbits
; Kernel info:
; codeLenInByte = 3576
; NumSgprs: 32
; NumVgprs: 18
; NumAgprs: 0
; TotalNumVgprs: 18
; ScratchSize: 0
; MemoryBound: 0
; FloatMode: 240
; IeeeMode: 1
; LDSByteSize: 16 bytes/workgroup (compile time only)
; SGPRBlocks: 3
; VGPRBlocks: 2
; NumSGPRsForWavesPerEU: 32
; NumVGPRsForWavesPerEU: 18
; AccumOffset: 20
; Occupancy: 8
; WaveLimiterHint : 1
; COMPUTE_PGM_RSRC2:SCRATCH_EN: 0
; COMPUTE_PGM_RSRC2:USER_SGPR: 2
; COMPUTE_PGM_RSRC2:TRAP_HANDLER: 0
; COMPUTE_PGM_RSRC2:TGID_X_EN: 1
; COMPUTE_PGM_RSRC2:TGID_Y_EN: 1
; COMPUTE_PGM_RSRC2:TGID_Z_EN: 0
; COMPUTE_PGM_RSRC2:TIDIG_COMP_CNT: 1
; COMPUTE_PGM_RSRC3_GFX90A:ACCUM_OFFSET: 4
; COMPUTE_PGM_RSRC3_GFX90A:TG_SPLIT: 0
	.section	.text._ZN4vllm38cp_gather_indexer_k_quant_cache_kernelILi8EEEvPKcPcS3_PKiS5_illllliii,"axG",@progbits,_ZN4vllm38cp_gather_indexer_k_quant_cache_kernelILi8EEEvPKcPcS3_PKiS5_illllliii,comdat
	.protected	_ZN4vllm38cp_gather_indexer_k_quant_cache_kernelILi8EEEvPKcPcS3_PKiS5_illllliii ; -- Begin function _ZN4vllm38cp_gather_indexer_k_quant_cache_kernelILi8EEEvPKcPcS3_PKiS5_illllliii
	.globl	_ZN4vllm38cp_gather_indexer_k_quant_cache_kernelILi8EEEvPKcPcS3_PKiS5_illllliii
	.p2align	8
	.type	_ZN4vllm38cp_gather_indexer_k_quant_cache_kernelILi8EEEvPKcPcS3_PKiS5_illllliii,@function
_ZN4vllm38cp_gather_indexer_k_quant_cache_kernelILi8EEEvPKcPcS3_PKiS5_illllliii: ; @_ZN4vllm38cp_gather_indexer_k_quant_cache_kernelILi8EEEvPKcPcS3_PKiS5_illllliii
; %bb.0:
	s_load_dwordx2 s[6:7], s[0:1], 0x20
	s_load_dword s10, s[0:1], 0x74
	v_bfe_u32 v1, v0, 10, 10
	v_and_b32_e32 v5, 0x3ff, v0
	v_cmp_eq_u32_e64 s[4:5], 0, v5
	v_lshlrev_b32_e32 v4, 2, v1
	s_and_saveexec_b64 s[8:9], s[4:5]
	s_cbranch_execz .LBB63_2
; %bb.1:
	v_mov_b32_e32 v0, -1
	ds_write_b32 v4, v0
.LBB63_2:
	s_or_b64 exec, exec, s[8:9]
	s_waitcnt lgkmcnt(0)
	s_lshr_b32 s8, s10, 16
	s_and_b32 s10, s10, 0xffff
	v_cvt_f32_u32_e32 v0, s10
	s_load_dword s11, s[0:1], 0x28
	s_mul_i32 s2, s2, s8
	s_sub_i32 s9, 0, s10
	v_rcp_iflag_f32_e32 v0, v0
	v_add_u32_e32 v8, s2, v1
	s_waitcnt lgkmcnt(0)
	s_add_i32 s2, s11, s10
	s_add_i32 s2, s2, -1
	v_mul_f32_e32 v0, 0x4f7ffffe, v0
	v_cvt_u32_f32_e32 v0, v0
	s_ashr_i32 s8, s2, 31
	s_abs_i32 s2, s2
	v_readfirstlane_b32 s12, v0
	s_mul_i32 s9, s9, s12
	s_mul_hi_u32 s9, s12, s9
	s_add_i32 s12, s12, s9
	s_mul_hi_u32 s9, s2, s12
	s_mul_i32 s12, s9, s10
	s_sub_i32 s2, s2, s12
	s_add_i32 s12, s9, 1
	s_sub_i32 s13, s2, s10
	s_cmp_ge_u32 s2, s10
	s_cselect_b32 s9, s12, s9
	s_cselect_b32 s2, s13, s2
	s_add_i32 s12, s9, 1
	s_cmp_ge_u32 s2, s10
	s_cselect_b32 s2, s12, s9
	s_xor_b32 s2, s2, s8
	s_sub_i32 s2, s2, s8
	s_cmp_lt_i32 s2, 1
	s_barrier
	s_cbranch_scc1 .LBB63_9
; %bb.3:
	v_mov_b32_e32 v0, v5
	s_branch .LBB63_5
.LBB63_4:                               ;   in Loop: Header=BB63_5 Depth=1
	s_or_b64 exec, exec, s[8:9]
	s_add_i32 s2, s2, -1
	s_cmp_eq_u32 s2, 0
	v_add_u32_e32 v0, s10, v0
	s_cbranch_scc1 .LBB63_9
.LBB63_5:                               ; =>This Inner Loop Header: Depth=1
	v_cmp_gt_i32_e32 vcc, s11, v0
	s_and_saveexec_b64 s[8:9], vcc
	s_cbranch_execz .LBB63_4
; %bb.6:                                ;   in Loop: Header=BB63_5 Depth=1
	v_ashrrev_i32_e32 v1, 31, v0
	v_lshl_add_u64 v[2:3], v[0:1], 2, s[6:7]
	global_load_dword v1, v[2:3], off
	s_waitcnt vmcnt(0)
	v_cmp_ge_i32_e32 vcc, v8, v1
	s_and_b64 exec, exec, vcc
	s_cbranch_execz .LBB63_4
; %bb.7:                                ;   in Loop: Header=BB63_5 Depth=1
	global_load_dword v1, v[2:3], off offset:4
	s_waitcnt vmcnt(0)
	v_cmp_lt_i32_e32 vcc, v8, v1
	s_and_b64 exec, exec, vcc
	s_cbranch_execz .LBB63_4
; %bb.8:                                ;   in Loop: Header=BB63_5 Depth=1
	ds_write_b32 v4, v0
	s_branch .LBB63_4
.LBB63_9:
	s_load_dwordx4 s[12:15], s[0:1], 0x30
	s_mul_i32 s3, s3, s10
	v_add_lshl_u32 v0, s3, v5, 4
	v_ashrrev_i32_e32 v1, 31, v0
	s_waitcnt lgkmcnt(0)
	v_cmp_gt_i64_e32 vcc, s[14:15], v[0:1]
	s_barrier
	s_and_saveexec_b64 s[2:3], vcc
	s_cbranch_execz .LBB63_25
; %bb.10:
	s_load_dwordx4 s[8:11], s[0:1], 0x58
	ds_read_b32 v2, v4
	s_waitcnt lgkmcnt(0)
	v_cmp_gt_i32_e32 vcc, s9, v8
	v_cmp_lt_i32_e64 s[2:3], -1, v2
	s_and_b64 s[2:3], vcc, s[2:3]
	s_and_b64 exec, exec, s[2:3]
	s_cbranch_execz .LBB63_25
; %bb.11:
	v_mov_b32_e32 v3, 0
	v_lshl_add_u64 v[4:5], v[2:3], 2, s[6:7]
	global_load_dword v4, v[4:5], off
	s_load_dwordx2 s[6:7], s[0:1], 0x50
	s_load_dwordx2 s[22:23], s[0:1], 0x18
	;; [unrolled: 1-line block ×3, first 2 shown]
	v_mov_b32_e32 v6, v3
	s_waitcnt vmcnt(0)
	v_sub_u32_e32 v4, v8, v4
	v_ashrrev_i32_e32 v5, 31, v4
	s_waitcnt lgkmcnt(0)
	v_or_b32_e32 v7, s7, v5
	v_cmp_ne_u64_e32 vcc, 0, v[6:7]
                                        ; implicit-def: $vgpr6_vgpr7
	s_and_saveexec_b64 s[2:3], vcc
	s_xor_b64 s[16:17], exec, s[2:3]
	s_cbranch_execz .LBB63_13
; %bb.12:
	s_ashr_i32 s18, s7, 31
	s_add_u32 s2, s6, s18
	s_mov_b32 s19, s18
	s_addc_u32 s3, s7, s18
	s_xor_b64 s[24:25], s[2:3], s[18:19]
	v_cvt_f32_u32_e32 v6, s24
	v_cvt_f32_u32_e32 v7, s25
	s_sub_u32 s2, 0, s24
	s_subb_u32 s3, 0, s25
	v_mov_b32_e32 v11, v3
	v_fmamk_f32 v6, v7, 0x4f800000, v6
	v_rcp_f32_e32 v6, v6
	s_nop 0
	v_mul_f32_e32 v6, 0x5f7ffffc, v6
	v_mul_f32_e32 v7, 0x2f800000, v6
	v_trunc_f32_e32 v7, v7
	v_fmamk_f32 v6, v7, 0xcf800000, v6
	v_cvt_u32_f32_e32 v9, v7
	v_cvt_u32_f32_e32 v12, v6
	v_mul_lo_u32 v6, s2, v9
	v_mul_hi_u32 v10, s2, v12
	v_mul_lo_u32 v7, s3, v12
	v_add_u32_e32 v6, v10, v6
	v_mul_lo_u32 v13, s2, v12
	v_add_u32_e32 v14, v6, v7
	v_mul_hi_u32 v7, v12, v14
	v_mul_lo_u32 v6, v12, v14
	v_mul_hi_u32 v10, v12, v13
	v_lshl_add_u64 v[6:7], v[10:11], 0, v[6:7]
	v_mul_hi_u32 v11, v9, v13
	v_mul_lo_u32 v13, v9, v13
	v_add_co_u32_e32 v6, vcc, v6, v13
	v_mul_hi_u32 v10, v9, v14
	s_nop 0
	v_addc_co_u32_e32 v6, vcc, v7, v11, vcc
	v_mov_b32_e32 v7, v3
	s_nop 0
	v_addc_co_u32_e32 v11, vcc, 0, v10, vcc
	v_mul_lo_u32 v10, v9, v14
	v_lshl_add_u64 v[6:7], v[6:7], 0, v[10:11]
	v_add_co_u32_e32 v12, vcc, v12, v6
	v_mul_lo_u32 v10, s2, v12
	s_nop 0
	v_addc_co_u32_e32 v9, vcc, v9, v7, vcc
	v_mul_lo_u32 v6, s2, v9
	v_mul_hi_u32 v7, s2, v12
	v_add_u32_e32 v6, v7, v6
	v_mul_lo_u32 v7, s3, v12
	v_add_u32_e32 v13, v6, v7
	v_mul_hi_u32 v15, v9, v10
	v_mul_lo_u32 v16, v9, v10
	v_mul_hi_u32 v7, v12, v13
	v_mul_lo_u32 v6, v12, v13
	v_mul_hi_u32 v10, v12, v10
	v_mov_b32_e32 v11, v3
	v_lshl_add_u64 v[6:7], v[10:11], 0, v[6:7]
	v_add_co_u32_e32 v6, vcc, v6, v16
	v_mul_hi_u32 v14, v9, v13
	s_nop 0
	v_addc_co_u32_e32 v6, vcc, v7, v15, vcc
	v_mul_lo_u32 v10, v9, v13
	s_nop 0
	v_addc_co_u32_e32 v11, vcc, 0, v14, vcc
	v_mov_b32_e32 v7, v3
	v_lshl_add_u64 v[6:7], v[6:7], 0, v[10:11]
	v_add_co_u32_e32 v14, vcc, v12, v6
	v_mov_b32_e32 v6, v5
	s_nop 0
	v_addc_co_u32_e32 v9, vcc, v9, v7, vcc
	v_mov_b32_e32 v7, v5
	v_lshl_add_u64 v[10:11], v[4:5], 0, v[6:7]
	v_xor_b32_e32 v17, v10, v6
	v_xor_b32_e32 v16, v11, v7
	v_mad_u64_u32 v[10:11], s[2:3], v17, v9, 0
	v_mul_hi_u32 v12, v17, v14
	v_mov_b32_e32 v13, v3
	v_lshl_add_u64 v[10:11], v[12:13], 0, v[10:11]
	v_mad_u64_u32 v[14:15], s[2:3], v16, v14, 0
	v_mad_u64_u32 v[12:13], s[2:3], v16, v9, 0
	v_add_co_u32_e32 v9, vcc, v10, v14
	v_xor_b32_e32 v6, s18, v6
	s_nop 0
	v_addc_co_u32_e32 v10, vcc, v11, v15, vcc
	v_mov_b32_e32 v11, v3
	s_nop 0
	v_addc_co_u32_e32 v13, vcc, 0, v13, vcc
	v_lshl_add_u64 v[10:11], v[10:11], 0, v[12:13]
	v_mul_lo_u32 v3, s25, v10
	v_mul_lo_u32 v9, s24, v11
	v_mad_u64_u32 v[12:13], s[2:3], s24, v10, 0
	v_add3_u32 v3, v13, v9, v3
	v_sub_u32_e32 v9, v16, v3
	v_mov_b32_e32 v13, s25
	v_sub_co_u32_e32 v17, vcc, v17, v12
	v_lshl_add_u64 v[14:15], v[10:11], 0, 1
	s_nop 0
	v_subb_co_u32_e64 v9, s[2:3], v9, v13, vcc
	v_subrev_co_u32_e64 v12, s[2:3], s24, v17
	v_subb_co_u32_e32 v3, vcc, v16, v3, vcc
	s_nop 0
	v_subbrev_co_u32_e64 v9, s[2:3], 0, v9, s[2:3]
	v_cmp_le_u32_e64 s[2:3], s25, v9
	v_cmp_le_u32_e32 vcc, s25, v3
	v_xor_b32_e32 v7, s18, v7
	v_cndmask_b32_e64 v13, 0, -1, s[2:3]
	v_cmp_le_u32_e64 s[2:3], s24, v12
	s_nop 1
	v_cndmask_b32_e64 v12, 0, -1, s[2:3]
	v_cmp_eq_u32_e64 s[2:3], s25, v9
	s_nop 1
	v_cndmask_b32_e64 v9, v13, v12, s[2:3]
	v_lshl_add_u64 v[12:13], v[10:11], 0, 2
	v_cmp_ne_u32_e64 s[2:3], 0, v9
	s_nop 1
	v_cndmask_b32_e64 v9, v15, v13, s[2:3]
	v_cndmask_b32_e64 v13, 0, -1, vcc
	v_cmp_le_u32_e32 vcc, s24, v17
	s_nop 1
	v_cndmask_b32_e64 v15, 0, -1, vcc
	v_cmp_eq_u32_e32 vcc, s25, v3
	s_nop 1
	v_cndmask_b32_e32 v3, v13, v15, vcc
	v_cmp_ne_u32_e32 vcc, 0, v3
	s_nop 1
	v_cndmask_b32_e32 v3, v11, v9, vcc
	v_cndmask_b32_e64 v9, v14, v12, s[2:3]
	v_cndmask_b32_e32 v9, v10, v9, vcc
	v_xor_b32_e32 v9, v9, v6
	v_xor_b32_e32 v3, v3, v7
	v_sub_co_u32_e32 v6, vcc, v9, v6
	s_nop 1
	v_subb_co_u32_e32 v7, vcc, v3, v7, vcc
.LBB63_13:
	s_or_saveexec_b64 s[2:3], s[16:17]
	s_load_dwordx4 s[16:19], s[0:1], 0x0
	s_xor_b64 exec, exec, s[2:3]
	s_cbranch_execz .LBB63_15
; %bb.14:
	v_cvt_f32_u32_e32 v3, s6
	s_sub_i32 s9, 0, s6
	v_rcp_iflag_f32_e32 v3, v3
	s_nop 0
	v_mul_f32_e32 v3, 0x4f7ffffe, v3
	v_cvt_u32_f32_e32 v3, v3
	v_mul_lo_u32 v6, s9, v3
	v_mul_hi_u32 v6, v3, v6
	v_add_u32_e32 v3, v3, v6
	v_mul_hi_u32 v3, v4, v3
	v_mul_lo_u32 v6, v3, s6
	v_sub_u32_e32 v6, v4, v6
	v_add_u32_e32 v7, 1, v3
	v_subrev_u32_e32 v9, s6, v6
	v_cmp_le_u32_e32 vcc, s6, v6
	s_nop 1
	v_cndmask_b32_e32 v6, v6, v9, vcc
	v_cndmask_b32_e32 v3, v3, v7, vcc
	v_add_u32_e32 v7, 1, v3
	v_cmp_le_u32_e32 vcc, s6, v6
	s_nop 1
	v_cndmask_b32_e32 v6, v3, v7, vcc
	v_mov_b32_e32 v7, 0
.LBB63_15:
	s_or_b64 exec, exec, s[2:3]
	v_mul_lo_u32 v2, v2, s8
	v_ashrrev_i32_e32 v3, 31, v2
	v_lshl_add_u64 v[10:11], v[6:7], 2, s[22:23]
	v_lshl_add_u64 v[2:3], v[2:3], 2, v[10:11]
	global_load_dword v2, v[2:3], off
	v_mul_lo_u32 v3, v7, s6
	v_mul_lo_u32 v9, v6, s7
	v_mad_u64_u32 v[6:7], s[2:3], v6, s6, 0
	v_add3_u32 v3, v7, v9, v3
	v_sub_co_u32_e32 v4, vcc, v4, v6
	v_mul_lo_u32 v6, v4, s15
	s_nop 0
	v_subb_co_u32_e32 v3, vcc, v5, v3, vcc
	v_mad_u64_u32 v[4:5], s[2:3], v4, s14, v[0:1]
	v_mul_lo_u32 v3, v3, s14
	v_add3_u32 v5, v3, v5, v6
	v_mov_b32_e32 v7, 0
	v_mad_u64_u32 v[0:1], s[2:3], v8, s12, v[0:1]
	s_waitcnt vmcnt(0)
	v_ashrrev_i32_e32 v3, 31, v2
	v_mul_lo_u32 v9, v2, s21
	v_mad_u64_u32 v[12:13], s[2:3], v2, s20, v[4:5]
	v_mul_lo_u32 v10, v3, s20
	v_add3_u32 v13, v10, v13, v9
	v_ashrrev_i32_e32 v3, 31, v13
	v_lshrrev_b32_e32 v6, 28, v3
	v_lshl_add_u64 v[12:13], v[12:13], 0, v[6:7]
	v_and_b32_e32 v12, -16, v12
	s_waitcnt lgkmcnt(0)
	v_lshl_add_u64 v[12:13], s[16:17], 0, v[12:13]
	global_load_dwordx4 v[12:15], v[12:13], off
	v_ashrrev_i32_e32 v3, 31, v8
	v_mul_lo_u32 v6, v8, s13
	v_mul_lo_u32 v3, v3, s12
	v_add3_u32 v1, v3, v1, v6
	v_ashrrev_i32_e32 v3, 31, v1
	v_lshrrev_b32_e32 v6, 28, v3
	v_lshl_add_u64 v[16:17], v[0:1], 0, v[6:7]
	v_and_b32_e32 v16, -16, v16
	v_lshl_add_u64 v[16:17], s[18:19], 0, v[16:17]
	s_waitcnt vmcnt(0)
	global_store_dwordx4 v[16:17], v[12:15], off
	s_and_b64 exec, exec, s[4:5]
	s_cbranch_execz .LBB63_25
; %bb.16:
	v_mad_u64_u32 v[2:3], s[2:3], v2, s20, 0
	v_lshlrev_b64 v[4:5], 2, v[4:5]
	s_ashr_i32 s11, s10, 31
	v_add3_u32 v3, v3, v9, v10
	v_or_b32_e32 v9, s11, v5
	v_mov_b32_e32 v8, v7
	v_cmp_ne_u64_e32 vcc, 0, v[8:9]
                                        ; implicit-def: $vgpr6_vgpr7
	s_and_saveexec_b64 s[2:3], vcc
	s_xor_b64 s[4:5], exec, s[2:3]
	s_cbranch_execz .LBB63_18
; %bb.17:
	s_add_u32 s2, s10, s11
	s_mov_b32 s8, s11
	s_mov_b32 s9, s11
	s_addc_u32 s3, s11, s11
	s_xor_b64 s[12:13], s[2:3], s[8:9]
	v_cvt_f32_u32_e32 v6, s12
	v_cvt_f32_u32_e32 v7, s13
	s_sub_u32 s2, 0, s12
	s_subb_u32 s3, 0, s13
	v_mov_b32_e32 v9, 0
	v_fmamk_f32 v6, v7, 0x4f800000, v6
	v_rcp_f32_e32 v6, v6
	s_nop 0
	v_mul_f32_e32 v6, 0x5f7ffffc, v6
	v_mul_f32_e32 v7, 0x2f800000, v6
	v_trunc_f32_e32 v7, v7
	v_fmamk_f32 v6, v7, 0xcf800000, v6
	v_cvt_u32_f32_e32 v10, v7
	v_cvt_u32_f32_e32 v11, v6
	v_mul_lo_u32 v6, s2, v10
	v_mul_hi_u32 v8, s2, v11
	v_mul_lo_u32 v7, s3, v11
	v_add_u32_e32 v6, v8, v6
	v_mul_lo_u32 v12, s2, v11
	v_add_u32_e32 v13, v6, v7
	v_mul_hi_u32 v7, v11, v13
	v_mul_lo_u32 v6, v11, v13
	v_mul_hi_u32 v8, v11, v12
	v_lshl_add_u64 v[6:7], v[8:9], 0, v[6:7]
	v_mul_hi_u32 v8, v10, v12
	v_mul_lo_u32 v12, v10, v12
	v_add_co_u32_e32 v6, vcc, v6, v12
	v_mul_hi_u32 v14, v10, v13
	s_nop 0
	v_addc_co_u32_e32 v8, vcc, v7, v8, vcc
	v_mul_lo_u32 v6, v10, v13
	s_nop 0
	v_addc_co_u32_e32 v7, vcc, 0, v14, vcc
	v_lshl_add_u64 v[6:7], v[8:9], 0, v[6:7]
	v_add_co_u32_e32 v11, vcc, v11, v6
	v_mul_lo_u32 v8, s2, v11
	s_nop 0
	v_addc_co_u32_e32 v10, vcc, v10, v7, vcc
	v_mul_lo_u32 v6, s2, v10
	v_mul_hi_u32 v7, s2, v11
	v_add_u32_e32 v6, v7, v6
	v_mul_lo_u32 v7, s3, v11
	v_add_u32_e32 v12, v6, v7
	v_mul_hi_u32 v14, v10, v8
	v_mul_lo_u32 v15, v10, v8
	v_mul_hi_u32 v7, v11, v12
	v_mul_lo_u32 v6, v11, v12
	v_mul_hi_u32 v8, v11, v8
	v_lshl_add_u64 v[6:7], v[8:9], 0, v[6:7]
	v_add_co_u32_e32 v6, vcc, v6, v15
	v_mul_hi_u32 v13, v10, v12
	s_nop 0
	v_addc_co_u32_e32 v8, vcc, v7, v14, vcc
	v_mul_lo_u32 v6, v10, v12
	s_nop 0
	v_addc_co_u32_e32 v7, vcc, 0, v13, vcc
	v_lshl_add_u64 v[6:7], v[8:9], 0, v[6:7]
	v_add_co_u32_e32 v12, vcc, v11, v6
	v_ashrrev_i32_e32 v6, 31, v5
	s_nop 0
	v_addc_co_u32_e32 v10, vcc, v10, v7, vcc
	v_mov_b32_e32 v7, v6
	v_lshl_add_u64 v[4:5], v[4:5], 0, v[6:7]
	v_xor_b32_e32 v14, v4, v6
	v_xor_b32_e32 v7, v5, v6
	v_mad_u64_u32 v[4:5], s[2:3], v14, v10, 0
	v_mul_hi_u32 v8, v14, v12
	v_lshl_add_u64 v[4:5], v[8:9], 0, v[4:5]
	v_mad_u64_u32 v[12:13], s[2:3], v7, v12, 0
	v_add_co_u32_e32 v4, vcc, v4, v12
	v_mad_u64_u32 v[10:11], s[2:3], v7, v10, 0
	s_nop 0
	v_addc_co_u32_e32 v8, vcc, v5, v13, vcc
	s_nop 1
	v_addc_co_u32_e32 v11, vcc, 0, v11, vcc
	v_lshl_add_u64 v[4:5], v[8:9], 0, v[10:11]
	v_mul_lo_u32 v10, s13, v4
	v_mul_lo_u32 v11, s12, v5
	v_mad_u64_u32 v[8:9], s[2:3], s12, v4, 0
	v_add3_u32 v12, v9, v11, v10
	v_sub_u32_e32 v9, v7, v12
	v_mov_b32_e32 v10, s13
	v_sub_co_u32_e32 v13, vcc, v14, v8
	s_nop 1
	v_subb_co_u32_e64 v8, s[2:3], v9, v10, vcc
	v_subrev_co_u32_e64 v9, s[2:3], s12, v13
	v_subb_co_u32_e32 v7, vcc, v7, v12, vcc
	s_nop 0
	v_subbrev_co_u32_e64 v8, s[2:3], 0, v8, s[2:3]
	v_cmp_le_u32_e64 s[2:3], s13, v8
	v_cmp_le_u32_e32 vcc, s13, v7
	s_nop 0
	v_cndmask_b32_e64 v10, 0, -1, s[2:3]
	v_cmp_le_u32_e64 s[2:3], s12, v9
	s_nop 1
	v_cndmask_b32_e64 v9, 0, -1, s[2:3]
	v_cmp_eq_u32_e64 s[2:3], s13, v8
	s_nop 1
	v_cndmask_b32_e64 v14, v10, v9, s[2:3]
	v_lshl_add_u64 v[8:9], v[4:5], 0, 2
	v_lshl_add_u64 v[10:11], v[4:5], 0, 1
	v_cmp_ne_u32_e64 s[2:3], 0, v14
	s_nop 1
	v_cndmask_b32_e64 v9, v11, v9, s[2:3]
	v_cndmask_b32_e64 v11, 0, -1, vcc
	v_cmp_le_u32_e32 vcc, s12, v13
	s_nop 1
	v_cndmask_b32_e64 v12, 0, -1, vcc
	v_cmp_eq_u32_e32 vcc, s13, v7
	s_nop 1
	v_cndmask_b32_e32 v7, v11, v12, vcc
	v_cmp_ne_u32_e32 vcc, 0, v7
	v_cndmask_b32_e64 v7, v10, v8, s[2:3]
	s_nop 0
	v_cndmask_b32_e32 v4, v4, v7, vcc
	v_xor_b32_e32 v7, s9, v6
	v_xor_b32_e32 v6, s8, v6
	v_cndmask_b32_e32 v5, v5, v9, vcc
	v_xor_b32_e32 v4, v4, v6
	v_xor_b32_e32 v5, v5, v7
	v_sub_co_u32_e32 v6, vcc, v4, v6
	s_nop 1
	v_subb_co_u32_e32 v7, vcc, v5, v7, vcc
                                        ; implicit-def: $vgpr4_vgpr5
.LBB63_18:
	s_or_saveexec_b64 s[2:3], s[4:5]
	v_cvt_f32_u32_e32 v8, s10
	s_xor_b64 exec, exec, s[2:3]
	s_cbranch_execz .LBB63_20
; %bb.19:
	v_rcp_iflag_f32_e32 v5, v8
	s_sub_i32 s4, 0, s10
	v_mul_f32_e32 v5, 0x4f7ffffe, v5
	v_cvt_u32_f32_e32 v5, v5
	v_mul_lo_u32 v6, s4, v5
	v_mul_hi_u32 v6, v5, v6
	v_add_u32_e32 v5, v5, v6
	v_mul_hi_u32 v5, v4, v5
	v_mul_lo_u32 v6, v5, s10
	v_sub_u32_e32 v4, v4, v6
	v_add_u32_e32 v7, 1, v5
	v_subrev_u32_e32 v6, s10, v4
	v_cmp_le_u32_e32 vcc, s10, v4
	s_nop 1
	v_cndmask_b32_e32 v4, v4, v6, vcc
	v_cndmask_b32_e32 v5, v5, v7, vcc
	v_add_u32_e32 v6, 1, v5
	v_cmp_le_u32_e32 vcc, s10, v4
	v_mov_b32_e32 v7, 0
	s_nop 0
	v_cndmask_b32_e32 v6, v5, v6, vcc
.LBB63_20:
	s_or_b64 exec, exec, s[2:3]
	s_mul_i32 s2, s7, s14
	s_mul_i32 s3, s6, s15
	v_mov_b32_e32 v4, s14
	s_add_i32 s4, s3, s2
	v_mad_u64_u32 v[2:3], s[2:3], s6, v4, v[2:3]
	v_add_u32_e32 v3, s4, v3
	v_lshl_add_u64 v[4:5], v[2:3], 0, v[6:7]
	v_ashrrev_i32_e32 v2, 31, v5
	v_lshrrev_b32_e32 v2, 30, v2
	v_mov_b32_e32 v3, 0
	v_lshl_add_u64 v[4:5], v[4:5], 0, v[2:3]
	v_and_b32_e32 v4, -4, v4
	v_lshl_add_u64 v[4:5], s[16:17], 0, v[4:5]
	global_load_dword v6, v[4:5], off
	s_load_dwordx2 s[2:3], s[0:1], 0x10
	v_or_b32_e32 v5, s11, v1
	v_mov_b32_e32 v4, v3
	v_cmp_ne_u64_e32 vcc, 0, v[4:5]
                                        ; implicit-def: $vgpr4_vgpr5
	s_and_saveexec_b64 s[0:1], vcc
	s_xor_b64 s[4:5], exec, s[0:1]
	s_cbranch_execz .LBB63_22
; %bb.21:
	s_add_u32 s0, s10, s11
	s_mov_b32 s6, s11
	s_mov_b32 s7, s11
	s_addc_u32 s1, s11, s11
	s_xor_b64 s[8:9], s[0:1], s[6:7]
	v_cvt_f32_u32_e32 v2, s8
	v_cvt_f32_u32_e32 v4, s9
	s_sub_u32 s0, 0, s8
	s_subb_u32 s1, 0, s9
	v_fmamk_f32 v2, v4, 0x4f800000, v2
	v_rcp_f32_e32 v2, v2
	s_nop 0
	v_mul_f32_e32 v2, 0x5f7ffffc, v2
	v_mul_f32_e32 v4, 0x2f800000, v2
	v_trunc_f32_e32 v4, v4
	v_fmamk_f32 v2, v4, 0xcf800000, v2
	v_cvt_u32_f32_e32 v7, v4
	v_cvt_u32_f32_e32 v8, v2
	v_mul_lo_u32 v2, s0, v7
	v_mul_hi_u32 v5, s0, v8
	v_mul_lo_u32 v4, s1, v8
	v_add_u32_e32 v2, v5, v2
	v_mul_lo_u32 v9, s0, v8
	v_add_u32_e32 v10, v2, v4
	v_mul_hi_u32 v5, v8, v10
	v_mul_lo_u32 v4, v8, v10
	v_mul_hi_u32 v2, v8, v9
	v_lshl_add_u64 v[4:5], v[2:3], 0, v[4:5]
	v_mul_hi_u32 v2, v7, v9
	v_mul_lo_u32 v9, v7, v9
	v_add_co_u32_e32 v4, vcc, v4, v9
	v_mul_hi_u32 v11, v7, v10
	s_nop 0
	v_addc_co_u32_e32 v2, vcc, v5, v2, vcc
	v_mul_lo_u32 v4, v7, v10
	s_nop 0
	v_addc_co_u32_e32 v5, vcc, 0, v11, vcc
	v_lshl_add_u64 v[4:5], v[2:3], 0, v[4:5]
	v_add_co_u32_e32 v8, vcc, v8, v4
	v_mul_hi_u32 v4, s0, v8
	s_nop 0
	v_addc_co_u32_e32 v7, vcc, v7, v5, vcc
	v_mul_lo_u32 v2, s0, v7
	v_add_u32_e32 v2, v4, v2
	v_mul_lo_u32 v4, s1, v8
	v_add_u32_e32 v9, v2, v4
	v_mul_lo_u32 v2, s0, v8
	v_mul_hi_u32 v11, v7, v2
	v_mul_lo_u32 v12, v7, v2
	v_mul_hi_u32 v5, v8, v9
	;; [unrolled: 2-line block ×3, first 2 shown]
	v_lshl_add_u64 v[4:5], v[2:3], 0, v[4:5]
	v_add_co_u32_e32 v2, vcc, v4, v12
	v_mul_hi_u32 v10, v7, v9
	s_nop 0
	v_addc_co_u32_e32 v2, vcc, v5, v11, vcc
	v_mul_lo_u32 v4, v7, v9
	s_nop 0
	v_addc_co_u32_e32 v5, vcc, 0, v10, vcc
	v_lshl_add_u64 v[4:5], v[2:3], 0, v[4:5]
	v_add_co_u32_e32 v10, vcc, v8, v4
	v_ashrrev_i32_e32 v4, 31, v1
	s_nop 0
	v_addc_co_u32_e32 v7, vcc, v7, v5, vcc
	v_mov_b32_e32 v5, v4
	v_lshl_add_u64 v[0:1], v[0:1], 0, v[4:5]
	v_xor_b32_e32 v12, v0, v4
	v_xor_b32_e32 v5, v1, v4
	v_mad_u64_u32 v[0:1], s[0:1], v12, v7, 0
	v_mul_hi_u32 v2, v12, v10
	v_lshl_add_u64 v[0:1], v[2:3], 0, v[0:1]
	v_mad_u64_u32 v[10:11], s[0:1], v5, v10, 0
	v_add_co_u32_e32 v0, vcc, v0, v10
	v_mad_u64_u32 v[8:9], s[0:1], v5, v7, 0
	s_nop 0
	v_addc_co_u32_e32 v2, vcc, v1, v11, vcc
	s_nop 1
	v_addc_co_u32_e32 v9, vcc, 0, v9, vcc
	v_lshl_add_u64 v[0:1], v[2:3], 0, v[8:9]
	v_mul_lo_u32 v7, s9, v0
	v_mul_lo_u32 v8, s8, v1
	v_mad_u64_u32 v[2:3], s[0:1], s8, v0, 0
	v_add3_u32 v7, v3, v8, v7
	v_sub_u32_e32 v3, v5, v7
	v_mov_b32_e32 v8, s9
	v_sub_co_u32_e32 v10, vcc, v12, v2
	s_nop 1
	v_subb_co_u32_e64 v2, s[0:1], v3, v8, vcc
	v_subrev_co_u32_e64 v3, s[0:1], s8, v10
	v_subb_co_u32_e32 v5, vcc, v5, v7, vcc
	s_nop 0
	v_subbrev_co_u32_e64 v2, s[0:1], 0, v2, s[0:1]
	v_cmp_le_u32_e64 s[0:1], s9, v2
	v_cmp_le_u32_e32 vcc, s9, v5
	s_nop 0
	v_cndmask_b32_e64 v8, 0, -1, s[0:1]
	v_cmp_le_u32_e64 s[0:1], s8, v3
	v_cndmask_b32_e64 v7, 0, -1, vcc
	v_cmp_le_u32_e32 vcc, s8, v10
	v_cndmask_b32_e64 v3, 0, -1, s[0:1]
	v_cmp_eq_u32_e64 s[0:1], s9, v2
	s_nop 1
	v_cndmask_b32_e64 v11, v8, v3, s[0:1]
	v_lshl_add_u64 v[2:3], v[0:1], 0, 2
	v_lshl_add_u64 v[8:9], v[0:1], 0, 1
	v_cmp_ne_u32_e64 s[0:1], 0, v11
	s_nop 1
	v_cndmask_b32_e64 v3, v9, v3, s[0:1]
	v_cndmask_b32_e64 v9, 0, -1, vcc
	v_cmp_eq_u32_e32 vcc, s9, v5
	v_cndmask_b32_e64 v2, v8, v2, s[0:1]
                                        ; implicit-def: $vgpr8
	s_nop 0
	v_cndmask_b32_e32 v5, v7, v9, vcc
	v_cmp_ne_u32_e32 vcc, 0, v5
	s_nop 1
	v_cndmask_b32_e32 v1, v1, v3, vcc
	v_cndmask_b32_e32 v0, v0, v2, vcc
	v_xor_b32_e32 v3, s6, v4
	v_xor_b32_e32 v2, s7, v4
	v_xor_b32_e32 v0, v0, v3
	v_xor_b32_e32 v1, v1, v2
	v_sub_co_u32_e32 v4, vcc, v0, v3
	s_nop 1
	v_subb_co_u32_e32 v5, vcc, v1, v2, vcc
                                        ; implicit-def: $vgpr0_vgpr1
.LBB63_22:
	s_andn2_saveexec_b64 s[0:1], s[4:5]
	s_cbranch_execz .LBB63_24
; %bb.23:
	v_rcp_iflag_f32_e32 v1, v8
	s_sub_i32 s4, 0, s10
	v_mov_b32_e32 v5, 0
	v_mul_f32_e32 v1, 0x4f7ffffe, v1
	v_cvt_u32_f32_e32 v1, v1
	v_mul_lo_u32 v2, s4, v1
	v_mul_hi_u32 v2, v1, v2
	v_add_u32_e32 v1, v1, v2
	v_mul_hi_u32 v1, v0, v1
	v_mul_lo_u32 v2, v1, s10
	v_sub_u32_e32 v0, v0, v2
	v_add_u32_e32 v3, 1, v1
	v_subrev_u32_e32 v2, s10, v0
	v_cmp_le_u32_e32 vcc, s10, v0
	s_nop 1
	v_cndmask_b32_e32 v0, v0, v2, vcc
	v_cndmask_b32_e32 v1, v1, v3, vcc
	v_add_u32_e32 v2, 1, v1
	v_cmp_le_u32_e32 vcc, s10, v0
	s_nop 1
	v_cndmask_b32_e32 v4, v1, v2, vcc
.LBB63_24:
	s_or_b64 exec, exec, s[0:1]
	s_waitcnt lgkmcnt(0)
	v_lshl_add_u64 v[0:1], v[4:5], 2, s[2:3]
	s_waitcnt vmcnt(0)
	global_store_dword v[0:1], v6, off
.LBB63_25:
	s_endpgm
	.section	.rodata,"a",@progbits
	.p2align	6, 0x0
	.amdhsa_kernel _ZN4vllm38cp_gather_indexer_k_quant_cache_kernelILi8EEEvPKcPcS3_PKiS5_illllliii
		.amdhsa_group_segment_fixed_size 32
		.amdhsa_private_segment_fixed_size 0
		.amdhsa_kernarg_size 360
		.amdhsa_user_sgpr_count 2
		.amdhsa_user_sgpr_dispatch_ptr 0
		.amdhsa_user_sgpr_queue_ptr 0
		.amdhsa_user_sgpr_kernarg_segment_ptr 1
		.amdhsa_user_sgpr_dispatch_id 0
		.amdhsa_user_sgpr_kernarg_preload_length 0
		.amdhsa_user_sgpr_kernarg_preload_offset 0
		.amdhsa_user_sgpr_private_segment_size 0
		.amdhsa_uses_dynamic_stack 0
		.amdhsa_enable_private_segment 0
		.amdhsa_system_sgpr_workgroup_id_x 1
		.amdhsa_system_sgpr_workgroup_id_y 1
		.amdhsa_system_sgpr_workgroup_id_z 0
		.amdhsa_system_sgpr_workgroup_info 0
		.amdhsa_system_vgpr_workitem_id 1
		.amdhsa_next_free_vgpr 18
		.amdhsa_next_free_sgpr 26
		.amdhsa_accum_offset 20
		.amdhsa_reserve_vcc 1
		.amdhsa_float_round_mode_32 0
		.amdhsa_float_round_mode_16_64 0
		.amdhsa_float_denorm_mode_32 3
		.amdhsa_float_denorm_mode_16_64 3
		.amdhsa_dx10_clamp 1
		.amdhsa_ieee_mode 1
		.amdhsa_fp16_overflow 0
		.amdhsa_tg_split 0
		.amdhsa_exception_fp_ieee_invalid_op 0
		.amdhsa_exception_fp_denorm_src 0
		.amdhsa_exception_fp_ieee_div_zero 0
		.amdhsa_exception_fp_ieee_overflow 0
		.amdhsa_exception_fp_ieee_underflow 0
		.amdhsa_exception_fp_ieee_inexact 0
		.amdhsa_exception_int_div_zero 0
	.end_amdhsa_kernel
	.section	.text._ZN4vllm38cp_gather_indexer_k_quant_cache_kernelILi8EEEvPKcPcS3_PKiS5_illllliii,"axG",@progbits,_ZN4vllm38cp_gather_indexer_k_quant_cache_kernelILi8EEEvPKcPcS3_PKiS5_illllliii,comdat
.Lfunc_end63:
	.size	_ZN4vllm38cp_gather_indexer_k_quant_cache_kernelILi8EEEvPKcPcS3_PKiS5_illllliii, .Lfunc_end63-_ZN4vllm38cp_gather_indexer_k_quant_cache_kernelILi8EEEvPKcPcS3_PKiS5_illllliii
                                        ; -- End function
	.section	.AMDGPU.csdata,"",@progbits
; Kernel info:
; codeLenInByte = 3576
; NumSgprs: 32
; NumVgprs: 18
; NumAgprs: 0
; TotalNumVgprs: 18
; ScratchSize: 0
; MemoryBound: 0
; FloatMode: 240
; IeeeMode: 1
; LDSByteSize: 32 bytes/workgroup (compile time only)
; SGPRBlocks: 3
; VGPRBlocks: 2
; NumSGPRsForWavesPerEU: 32
; NumVGPRsForWavesPerEU: 18
; AccumOffset: 20
; Occupancy: 8
; WaveLimiterHint : 1
; COMPUTE_PGM_RSRC2:SCRATCH_EN: 0
; COMPUTE_PGM_RSRC2:USER_SGPR: 2
; COMPUTE_PGM_RSRC2:TRAP_HANDLER: 0
; COMPUTE_PGM_RSRC2:TGID_X_EN: 1
; COMPUTE_PGM_RSRC2:TGID_Y_EN: 1
; COMPUTE_PGM_RSRC2:TGID_Z_EN: 0
; COMPUTE_PGM_RSRC2:TIDIG_COMP_CNT: 1
; COMPUTE_PGM_RSRC3_GFX90A:ACCUM_OFFSET: 4
; COMPUTE_PGM_RSRC3_GFX90A:TG_SPLIT: 0
	.section	.text._ZN4vllm38cp_gather_indexer_k_quant_cache_kernelILi16EEEvPKcPcS3_PKiS5_illllliii,"axG",@progbits,_ZN4vllm38cp_gather_indexer_k_quant_cache_kernelILi16EEEvPKcPcS3_PKiS5_illllliii,comdat
	.protected	_ZN4vllm38cp_gather_indexer_k_quant_cache_kernelILi16EEEvPKcPcS3_PKiS5_illllliii ; -- Begin function _ZN4vllm38cp_gather_indexer_k_quant_cache_kernelILi16EEEvPKcPcS3_PKiS5_illllliii
	.globl	_ZN4vllm38cp_gather_indexer_k_quant_cache_kernelILi16EEEvPKcPcS3_PKiS5_illllliii
	.p2align	8
	.type	_ZN4vllm38cp_gather_indexer_k_quant_cache_kernelILi16EEEvPKcPcS3_PKiS5_illllliii,@function
_ZN4vllm38cp_gather_indexer_k_quant_cache_kernelILi16EEEvPKcPcS3_PKiS5_illllliii: ; @_ZN4vllm38cp_gather_indexer_k_quant_cache_kernelILi16EEEvPKcPcS3_PKiS5_illllliii
; %bb.0:
	s_load_dwordx2 s[6:7], s[0:1], 0x20
	s_load_dword s10, s[0:1], 0x74
	v_bfe_u32 v1, v0, 10, 10
	v_and_b32_e32 v5, 0x3ff, v0
	v_cmp_eq_u32_e64 s[4:5], 0, v5
	v_lshlrev_b32_e32 v4, 2, v1
	s_and_saveexec_b64 s[8:9], s[4:5]
	s_cbranch_execz .LBB64_2
; %bb.1:
	v_mov_b32_e32 v0, -1
	ds_write_b32 v4, v0
.LBB64_2:
	s_or_b64 exec, exec, s[8:9]
	s_waitcnt lgkmcnt(0)
	s_lshr_b32 s8, s10, 16
	s_and_b32 s10, s10, 0xffff
	v_cvt_f32_u32_e32 v0, s10
	s_load_dword s11, s[0:1], 0x28
	s_mul_i32 s2, s2, s8
	s_sub_i32 s9, 0, s10
	v_rcp_iflag_f32_e32 v0, v0
	v_add_u32_e32 v8, s2, v1
	s_waitcnt lgkmcnt(0)
	s_add_i32 s2, s11, s10
	s_add_i32 s2, s2, -1
	v_mul_f32_e32 v0, 0x4f7ffffe, v0
	v_cvt_u32_f32_e32 v0, v0
	s_ashr_i32 s8, s2, 31
	s_abs_i32 s2, s2
	v_readfirstlane_b32 s12, v0
	s_mul_i32 s9, s9, s12
	s_mul_hi_u32 s9, s12, s9
	s_add_i32 s12, s12, s9
	s_mul_hi_u32 s9, s2, s12
	s_mul_i32 s12, s9, s10
	s_sub_i32 s2, s2, s12
	s_add_i32 s12, s9, 1
	s_sub_i32 s13, s2, s10
	s_cmp_ge_u32 s2, s10
	s_cselect_b32 s9, s12, s9
	s_cselect_b32 s2, s13, s2
	s_add_i32 s12, s9, 1
	s_cmp_ge_u32 s2, s10
	s_cselect_b32 s2, s12, s9
	s_xor_b32 s2, s2, s8
	s_sub_i32 s2, s2, s8
	s_cmp_lt_i32 s2, 1
	s_barrier
	s_cbranch_scc1 .LBB64_9
; %bb.3:
	v_mov_b32_e32 v0, v5
	s_branch .LBB64_5
.LBB64_4:                               ;   in Loop: Header=BB64_5 Depth=1
	s_or_b64 exec, exec, s[8:9]
	s_add_i32 s2, s2, -1
	s_cmp_eq_u32 s2, 0
	v_add_u32_e32 v0, s10, v0
	s_cbranch_scc1 .LBB64_9
.LBB64_5:                               ; =>This Inner Loop Header: Depth=1
	v_cmp_gt_i32_e32 vcc, s11, v0
	s_and_saveexec_b64 s[8:9], vcc
	s_cbranch_execz .LBB64_4
; %bb.6:                                ;   in Loop: Header=BB64_5 Depth=1
	v_ashrrev_i32_e32 v1, 31, v0
	v_lshl_add_u64 v[2:3], v[0:1], 2, s[6:7]
	global_load_dword v1, v[2:3], off
	s_waitcnt vmcnt(0)
	v_cmp_ge_i32_e32 vcc, v8, v1
	s_and_b64 exec, exec, vcc
	s_cbranch_execz .LBB64_4
; %bb.7:                                ;   in Loop: Header=BB64_5 Depth=1
	global_load_dword v1, v[2:3], off offset:4
	s_waitcnt vmcnt(0)
	v_cmp_lt_i32_e32 vcc, v8, v1
	s_and_b64 exec, exec, vcc
	s_cbranch_execz .LBB64_4
; %bb.8:                                ;   in Loop: Header=BB64_5 Depth=1
	ds_write_b32 v4, v0
	s_branch .LBB64_4
.LBB64_9:
	s_load_dwordx4 s[12:15], s[0:1], 0x30
	s_mul_i32 s3, s3, s10
	v_add_lshl_u32 v0, s3, v5, 4
	v_ashrrev_i32_e32 v1, 31, v0
	s_waitcnt lgkmcnt(0)
	v_cmp_gt_i64_e32 vcc, s[14:15], v[0:1]
	s_barrier
	s_and_saveexec_b64 s[2:3], vcc
	s_cbranch_execz .LBB64_25
; %bb.10:
	s_load_dwordx4 s[8:11], s[0:1], 0x58
	ds_read_b32 v2, v4
	s_waitcnt lgkmcnt(0)
	v_cmp_gt_i32_e32 vcc, s9, v8
	v_cmp_lt_i32_e64 s[2:3], -1, v2
	s_and_b64 s[2:3], vcc, s[2:3]
	s_and_b64 exec, exec, s[2:3]
	s_cbranch_execz .LBB64_25
; %bb.11:
	v_mov_b32_e32 v3, 0
	v_lshl_add_u64 v[4:5], v[2:3], 2, s[6:7]
	global_load_dword v4, v[4:5], off
	s_load_dwordx2 s[6:7], s[0:1], 0x50
	s_load_dwordx2 s[22:23], s[0:1], 0x18
	;; [unrolled: 1-line block ×3, first 2 shown]
	v_mov_b32_e32 v6, v3
	s_waitcnt vmcnt(0)
	v_sub_u32_e32 v4, v8, v4
	v_ashrrev_i32_e32 v5, 31, v4
	s_waitcnt lgkmcnt(0)
	v_or_b32_e32 v7, s7, v5
	v_cmp_ne_u64_e32 vcc, 0, v[6:7]
                                        ; implicit-def: $vgpr6_vgpr7
	s_and_saveexec_b64 s[2:3], vcc
	s_xor_b64 s[16:17], exec, s[2:3]
	s_cbranch_execz .LBB64_13
; %bb.12:
	s_ashr_i32 s18, s7, 31
	s_add_u32 s2, s6, s18
	s_mov_b32 s19, s18
	s_addc_u32 s3, s7, s18
	s_xor_b64 s[24:25], s[2:3], s[18:19]
	v_cvt_f32_u32_e32 v6, s24
	v_cvt_f32_u32_e32 v7, s25
	s_sub_u32 s2, 0, s24
	s_subb_u32 s3, 0, s25
	v_mov_b32_e32 v11, v3
	v_fmamk_f32 v6, v7, 0x4f800000, v6
	v_rcp_f32_e32 v6, v6
	s_nop 0
	v_mul_f32_e32 v6, 0x5f7ffffc, v6
	v_mul_f32_e32 v7, 0x2f800000, v6
	v_trunc_f32_e32 v7, v7
	v_fmamk_f32 v6, v7, 0xcf800000, v6
	v_cvt_u32_f32_e32 v9, v7
	v_cvt_u32_f32_e32 v12, v6
	v_mul_lo_u32 v6, s2, v9
	v_mul_hi_u32 v10, s2, v12
	v_mul_lo_u32 v7, s3, v12
	v_add_u32_e32 v6, v10, v6
	v_mul_lo_u32 v13, s2, v12
	v_add_u32_e32 v14, v6, v7
	v_mul_hi_u32 v7, v12, v14
	v_mul_lo_u32 v6, v12, v14
	v_mul_hi_u32 v10, v12, v13
	v_lshl_add_u64 v[6:7], v[10:11], 0, v[6:7]
	v_mul_hi_u32 v11, v9, v13
	v_mul_lo_u32 v13, v9, v13
	v_add_co_u32_e32 v6, vcc, v6, v13
	v_mul_hi_u32 v10, v9, v14
	s_nop 0
	v_addc_co_u32_e32 v6, vcc, v7, v11, vcc
	v_mov_b32_e32 v7, v3
	s_nop 0
	v_addc_co_u32_e32 v11, vcc, 0, v10, vcc
	v_mul_lo_u32 v10, v9, v14
	v_lshl_add_u64 v[6:7], v[6:7], 0, v[10:11]
	v_add_co_u32_e32 v12, vcc, v12, v6
	v_mul_lo_u32 v10, s2, v12
	s_nop 0
	v_addc_co_u32_e32 v9, vcc, v9, v7, vcc
	v_mul_lo_u32 v6, s2, v9
	v_mul_hi_u32 v7, s2, v12
	v_add_u32_e32 v6, v7, v6
	v_mul_lo_u32 v7, s3, v12
	v_add_u32_e32 v13, v6, v7
	v_mul_hi_u32 v15, v9, v10
	v_mul_lo_u32 v16, v9, v10
	v_mul_hi_u32 v7, v12, v13
	v_mul_lo_u32 v6, v12, v13
	v_mul_hi_u32 v10, v12, v10
	v_mov_b32_e32 v11, v3
	v_lshl_add_u64 v[6:7], v[10:11], 0, v[6:7]
	v_add_co_u32_e32 v6, vcc, v6, v16
	v_mul_hi_u32 v14, v9, v13
	s_nop 0
	v_addc_co_u32_e32 v6, vcc, v7, v15, vcc
	v_mul_lo_u32 v10, v9, v13
	s_nop 0
	v_addc_co_u32_e32 v11, vcc, 0, v14, vcc
	v_mov_b32_e32 v7, v3
	v_lshl_add_u64 v[6:7], v[6:7], 0, v[10:11]
	v_add_co_u32_e32 v14, vcc, v12, v6
	v_mov_b32_e32 v6, v5
	s_nop 0
	v_addc_co_u32_e32 v9, vcc, v9, v7, vcc
	v_mov_b32_e32 v7, v5
	v_lshl_add_u64 v[10:11], v[4:5], 0, v[6:7]
	v_xor_b32_e32 v17, v10, v6
	v_xor_b32_e32 v16, v11, v7
	v_mad_u64_u32 v[10:11], s[2:3], v17, v9, 0
	v_mul_hi_u32 v12, v17, v14
	v_mov_b32_e32 v13, v3
	v_lshl_add_u64 v[10:11], v[12:13], 0, v[10:11]
	v_mad_u64_u32 v[14:15], s[2:3], v16, v14, 0
	v_mad_u64_u32 v[12:13], s[2:3], v16, v9, 0
	v_add_co_u32_e32 v9, vcc, v10, v14
	v_xor_b32_e32 v6, s18, v6
	s_nop 0
	v_addc_co_u32_e32 v10, vcc, v11, v15, vcc
	v_mov_b32_e32 v11, v3
	s_nop 0
	v_addc_co_u32_e32 v13, vcc, 0, v13, vcc
	v_lshl_add_u64 v[10:11], v[10:11], 0, v[12:13]
	v_mul_lo_u32 v3, s25, v10
	v_mul_lo_u32 v9, s24, v11
	v_mad_u64_u32 v[12:13], s[2:3], s24, v10, 0
	v_add3_u32 v3, v13, v9, v3
	v_sub_u32_e32 v9, v16, v3
	v_mov_b32_e32 v13, s25
	v_sub_co_u32_e32 v17, vcc, v17, v12
	v_lshl_add_u64 v[14:15], v[10:11], 0, 1
	s_nop 0
	v_subb_co_u32_e64 v9, s[2:3], v9, v13, vcc
	v_subrev_co_u32_e64 v12, s[2:3], s24, v17
	v_subb_co_u32_e32 v3, vcc, v16, v3, vcc
	s_nop 0
	v_subbrev_co_u32_e64 v9, s[2:3], 0, v9, s[2:3]
	v_cmp_le_u32_e64 s[2:3], s25, v9
	v_cmp_le_u32_e32 vcc, s25, v3
	v_xor_b32_e32 v7, s18, v7
	v_cndmask_b32_e64 v13, 0, -1, s[2:3]
	v_cmp_le_u32_e64 s[2:3], s24, v12
	s_nop 1
	v_cndmask_b32_e64 v12, 0, -1, s[2:3]
	v_cmp_eq_u32_e64 s[2:3], s25, v9
	s_nop 1
	v_cndmask_b32_e64 v9, v13, v12, s[2:3]
	v_lshl_add_u64 v[12:13], v[10:11], 0, 2
	v_cmp_ne_u32_e64 s[2:3], 0, v9
	s_nop 1
	v_cndmask_b32_e64 v9, v15, v13, s[2:3]
	v_cndmask_b32_e64 v13, 0, -1, vcc
	v_cmp_le_u32_e32 vcc, s24, v17
	s_nop 1
	v_cndmask_b32_e64 v15, 0, -1, vcc
	v_cmp_eq_u32_e32 vcc, s25, v3
	s_nop 1
	v_cndmask_b32_e32 v3, v13, v15, vcc
	v_cmp_ne_u32_e32 vcc, 0, v3
	s_nop 1
	v_cndmask_b32_e32 v3, v11, v9, vcc
	v_cndmask_b32_e64 v9, v14, v12, s[2:3]
	v_cndmask_b32_e32 v9, v10, v9, vcc
	v_xor_b32_e32 v9, v9, v6
	v_xor_b32_e32 v3, v3, v7
	v_sub_co_u32_e32 v6, vcc, v9, v6
	s_nop 1
	v_subb_co_u32_e32 v7, vcc, v3, v7, vcc
.LBB64_13:
	s_or_saveexec_b64 s[2:3], s[16:17]
	s_load_dwordx4 s[16:19], s[0:1], 0x0
	s_xor_b64 exec, exec, s[2:3]
	s_cbranch_execz .LBB64_15
; %bb.14:
	v_cvt_f32_u32_e32 v3, s6
	s_sub_i32 s9, 0, s6
	v_rcp_iflag_f32_e32 v3, v3
	s_nop 0
	v_mul_f32_e32 v3, 0x4f7ffffe, v3
	v_cvt_u32_f32_e32 v3, v3
	v_mul_lo_u32 v6, s9, v3
	v_mul_hi_u32 v6, v3, v6
	v_add_u32_e32 v3, v3, v6
	v_mul_hi_u32 v3, v4, v3
	v_mul_lo_u32 v6, v3, s6
	v_sub_u32_e32 v6, v4, v6
	v_add_u32_e32 v7, 1, v3
	v_subrev_u32_e32 v9, s6, v6
	v_cmp_le_u32_e32 vcc, s6, v6
	s_nop 1
	v_cndmask_b32_e32 v6, v6, v9, vcc
	v_cndmask_b32_e32 v3, v3, v7, vcc
	v_add_u32_e32 v7, 1, v3
	v_cmp_le_u32_e32 vcc, s6, v6
	s_nop 1
	v_cndmask_b32_e32 v6, v3, v7, vcc
	v_mov_b32_e32 v7, 0
.LBB64_15:
	s_or_b64 exec, exec, s[2:3]
	v_mul_lo_u32 v2, v2, s8
	v_ashrrev_i32_e32 v3, 31, v2
	v_lshl_add_u64 v[10:11], v[6:7], 2, s[22:23]
	v_lshl_add_u64 v[2:3], v[2:3], 2, v[10:11]
	global_load_dword v2, v[2:3], off
	v_mul_lo_u32 v3, v7, s6
	v_mul_lo_u32 v9, v6, s7
	v_mad_u64_u32 v[6:7], s[2:3], v6, s6, 0
	v_add3_u32 v3, v7, v9, v3
	v_sub_co_u32_e32 v4, vcc, v4, v6
	v_mul_lo_u32 v6, v4, s15
	s_nop 0
	v_subb_co_u32_e32 v3, vcc, v5, v3, vcc
	v_mad_u64_u32 v[4:5], s[2:3], v4, s14, v[0:1]
	v_mul_lo_u32 v3, v3, s14
	v_add3_u32 v5, v3, v5, v6
	v_mov_b32_e32 v7, 0
	v_mad_u64_u32 v[0:1], s[2:3], v8, s12, v[0:1]
	s_waitcnt vmcnt(0)
	v_ashrrev_i32_e32 v3, 31, v2
	v_mul_lo_u32 v9, v2, s21
	v_mad_u64_u32 v[12:13], s[2:3], v2, s20, v[4:5]
	v_mul_lo_u32 v10, v3, s20
	v_add3_u32 v13, v10, v13, v9
	v_ashrrev_i32_e32 v3, 31, v13
	v_lshrrev_b32_e32 v6, 28, v3
	v_lshl_add_u64 v[12:13], v[12:13], 0, v[6:7]
	v_and_b32_e32 v12, -16, v12
	s_waitcnt lgkmcnt(0)
	v_lshl_add_u64 v[12:13], s[16:17], 0, v[12:13]
	global_load_dwordx4 v[12:15], v[12:13], off
	v_ashrrev_i32_e32 v3, 31, v8
	v_mul_lo_u32 v6, v8, s13
	v_mul_lo_u32 v3, v3, s12
	v_add3_u32 v1, v3, v1, v6
	v_ashrrev_i32_e32 v3, 31, v1
	v_lshrrev_b32_e32 v6, 28, v3
	v_lshl_add_u64 v[16:17], v[0:1], 0, v[6:7]
	v_and_b32_e32 v16, -16, v16
	v_lshl_add_u64 v[16:17], s[18:19], 0, v[16:17]
	s_waitcnt vmcnt(0)
	global_store_dwordx4 v[16:17], v[12:15], off
	s_and_b64 exec, exec, s[4:5]
	s_cbranch_execz .LBB64_25
; %bb.16:
	v_mad_u64_u32 v[2:3], s[2:3], v2, s20, 0
	v_lshlrev_b64 v[4:5], 2, v[4:5]
	s_ashr_i32 s11, s10, 31
	v_add3_u32 v3, v3, v9, v10
	v_or_b32_e32 v9, s11, v5
	v_mov_b32_e32 v8, v7
	v_cmp_ne_u64_e32 vcc, 0, v[8:9]
                                        ; implicit-def: $vgpr6_vgpr7
	s_and_saveexec_b64 s[2:3], vcc
	s_xor_b64 s[4:5], exec, s[2:3]
	s_cbranch_execz .LBB64_18
; %bb.17:
	s_add_u32 s2, s10, s11
	s_mov_b32 s8, s11
	s_mov_b32 s9, s11
	s_addc_u32 s3, s11, s11
	s_xor_b64 s[12:13], s[2:3], s[8:9]
	v_cvt_f32_u32_e32 v6, s12
	v_cvt_f32_u32_e32 v7, s13
	s_sub_u32 s2, 0, s12
	s_subb_u32 s3, 0, s13
	v_mov_b32_e32 v9, 0
	v_fmamk_f32 v6, v7, 0x4f800000, v6
	v_rcp_f32_e32 v6, v6
	s_nop 0
	v_mul_f32_e32 v6, 0x5f7ffffc, v6
	v_mul_f32_e32 v7, 0x2f800000, v6
	v_trunc_f32_e32 v7, v7
	v_fmamk_f32 v6, v7, 0xcf800000, v6
	v_cvt_u32_f32_e32 v10, v7
	v_cvt_u32_f32_e32 v11, v6
	v_mul_lo_u32 v6, s2, v10
	v_mul_hi_u32 v8, s2, v11
	v_mul_lo_u32 v7, s3, v11
	v_add_u32_e32 v6, v8, v6
	v_mul_lo_u32 v12, s2, v11
	v_add_u32_e32 v13, v6, v7
	v_mul_hi_u32 v7, v11, v13
	v_mul_lo_u32 v6, v11, v13
	v_mul_hi_u32 v8, v11, v12
	v_lshl_add_u64 v[6:7], v[8:9], 0, v[6:7]
	v_mul_hi_u32 v8, v10, v12
	v_mul_lo_u32 v12, v10, v12
	v_add_co_u32_e32 v6, vcc, v6, v12
	v_mul_hi_u32 v14, v10, v13
	s_nop 0
	v_addc_co_u32_e32 v8, vcc, v7, v8, vcc
	v_mul_lo_u32 v6, v10, v13
	s_nop 0
	v_addc_co_u32_e32 v7, vcc, 0, v14, vcc
	v_lshl_add_u64 v[6:7], v[8:9], 0, v[6:7]
	v_add_co_u32_e32 v11, vcc, v11, v6
	v_mul_lo_u32 v8, s2, v11
	s_nop 0
	v_addc_co_u32_e32 v10, vcc, v10, v7, vcc
	v_mul_lo_u32 v6, s2, v10
	v_mul_hi_u32 v7, s2, v11
	v_add_u32_e32 v6, v7, v6
	v_mul_lo_u32 v7, s3, v11
	v_add_u32_e32 v12, v6, v7
	v_mul_hi_u32 v14, v10, v8
	v_mul_lo_u32 v15, v10, v8
	v_mul_hi_u32 v7, v11, v12
	v_mul_lo_u32 v6, v11, v12
	v_mul_hi_u32 v8, v11, v8
	v_lshl_add_u64 v[6:7], v[8:9], 0, v[6:7]
	v_add_co_u32_e32 v6, vcc, v6, v15
	v_mul_hi_u32 v13, v10, v12
	s_nop 0
	v_addc_co_u32_e32 v8, vcc, v7, v14, vcc
	v_mul_lo_u32 v6, v10, v12
	s_nop 0
	v_addc_co_u32_e32 v7, vcc, 0, v13, vcc
	v_lshl_add_u64 v[6:7], v[8:9], 0, v[6:7]
	v_add_co_u32_e32 v12, vcc, v11, v6
	v_ashrrev_i32_e32 v6, 31, v5
	s_nop 0
	v_addc_co_u32_e32 v10, vcc, v10, v7, vcc
	v_mov_b32_e32 v7, v6
	v_lshl_add_u64 v[4:5], v[4:5], 0, v[6:7]
	v_xor_b32_e32 v14, v4, v6
	v_xor_b32_e32 v7, v5, v6
	v_mad_u64_u32 v[4:5], s[2:3], v14, v10, 0
	v_mul_hi_u32 v8, v14, v12
	v_lshl_add_u64 v[4:5], v[8:9], 0, v[4:5]
	v_mad_u64_u32 v[12:13], s[2:3], v7, v12, 0
	v_add_co_u32_e32 v4, vcc, v4, v12
	v_mad_u64_u32 v[10:11], s[2:3], v7, v10, 0
	s_nop 0
	v_addc_co_u32_e32 v8, vcc, v5, v13, vcc
	s_nop 1
	v_addc_co_u32_e32 v11, vcc, 0, v11, vcc
	v_lshl_add_u64 v[4:5], v[8:9], 0, v[10:11]
	v_mul_lo_u32 v10, s13, v4
	v_mul_lo_u32 v11, s12, v5
	v_mad_u64_u32 v[8:9], s[2:3], s12, v4, 0
	v_add3_u32 v12, v9, v11, v10
	v_sub_u32_e32 v9, v7, v12
	v_mov_b32_e32 v10, s13
	v_sub_co_u32_e32 v13, vcc, v14, v8
	s_nop 1
	v_subb_co_u32_e64 v8, s[2:3], v9, v10, vcc
	v_subrev_co_u32_e64 v9, s[2:3], s12, v13
	v_subb_co_u32_e32 v7, vcc, v7, v12, vcc
	s_nop 0
	v_subbrev_co_u32_e64 v8, s[2:3], 0, v8, s[2:3]
	v_cmp_le_u32_e64 s[2:3], s13, v8
	v_cmp_le_u32_e32 vcc, s13, v7
	s_nop 0
	v_cndmask_b32_e64 v10, 0, -1, s[2:3]
	v_cmp_le_u32_e64 s[2:3], s12, v9
	s_nop 1
	v_cndmask_b32_e64 v9, 0, -1, s[2:3]
	v_cmp_eq_u32_e64 s[2:3], s13, v8
	s_nop 1
	v_cndmask_b32_e64 v14, v10, v9, s[2:3]
	v_lshl_add_u64 v[8:9], v[4:5], 0, 2
	v_lshl_add_u64 v[10:11], v[4:5], 0, 1
	v_cmp_ne_u32_e64 s[2:3], 0, v14
	s_nop 1
	v_cndmask_b32_e64 v9, v11, v9, s[2:3]
	v_cndmask_b32_e64 v11, 0, -1, vcc
	v_cmp_le_u32_e32 vcc, s12, v13
	s_nop 1
	v_cndmask_b32_e64 v12, 0, -1, vcc
	v_cmp_eq_u32_e32 vcc, s13, v7
	s_nop 1
	v_cndmask_b32_e32 v7, v11, v12, vcc
	v_cmp_ne_u32_e32 vcc, 0, v7
	v_cndmask_b32_e64 v7, v10, v8, s[2:3]
	s_nop 0
	v_cndmask_b32_e32 v4, v4, v7, vcc
	v_xor_b32_e32 v7, s9, v6
	v_xor_b32_e32 v6, s8, v6
	v_cndmask_b32_e32 v5, v5, v9, vcc
	v_xor_b32_e32 v4, v4, v6
	v_xor_b32_e32 v5, v5, v7
	v_sub_co_u32_e32 v6, vcc, v4, v6
	s_nop 1
	v_subb_co_u32_e32 v7, vcc, v5, v7, vcc
                                        ; implicit-def: $vgpr4_vgpr5
.LBB64_18:
	s_or_saveexec_b64 s[2:3], s[4:5]
	v_cvt_f32_u32_e32 v8, s10
	s_xor_b64 exec, exec, s[2:3]
	s_cbranch_execz .LBB64_20
; %bb.19:
	v_rcp_iflag_f32_e32 v5, v8
	s_sub_i32 s4, 0, s10
	v_mul_f32_e32 v5, 0x4f7ffffe, v5
	v_cvt_u32_f32_e32 v5, v5
	v_mul_lo_u32 v6, s4, v5
	v_mul_hi_u32 v6, v5, v6
	v_add_u32_e32 v5, v5, v6
	v_mul_hi_u32 v5, v4, v5
	v_mul_lo_u32 v6, v5, s10
	v_sub_u32_e32 v4, v4, v6
	v_add_u32_e32 v7, 1, v5
	v_subrev_u32_e32 v6, s10, v4
	v_cmp_le_u32_e32 vcc, s10, v4
	s_nop 1
	v_cndmask_b32_e32 v4, v4, v6, vcc
	v_cndmask_b32_e32 v5, v5, v7, vcc
	v_add_u32_e32 v6, 1, v5
	v_cmp_le_u32_e32 vcc, s10, v4
	v_mov_b32_e32 v7, 0
	s_nop 0
	v_cndmask_b32_e32 v6, v5, v6, vcc
.LBB64_20:
	s_or_b64 exec, exec, s[2:3]
	s_mul_i32 s2, s7, s14
	s_mul_i32 s3, s6, s15
	v_mov_b32_e32 v4, s14
	s_add_i32 s4, s3, s2
	v_mad_u64_u32 v[2:3], s[2:3], s6, v4, v[2:3]
	v_add_u32_e32 v3, s4, v3
	v_lshl_add_u64 v[4:5], v[2:3], 0, v[6:7]
	v_ashrrev_i32_e32 v2, 31, v5
	v_lshrrev_b32_e32 v2, 30, v2
	v_mov_b32_e32 v3, 0
	v_lshl_add_u64 v[4:5], v[4:5], 0, v[2:3]
	v_and_b32_e32 v4, -4, v4
	v_lshl_add_u64 v[4:5], s[16:17], 0, v[4:5]
	global_load_dword v6, v[4:5], off
	s_load_dwordx2 s[2:3], s[0:1], 0x10
	v_or_b32_e32 v5, s11, v1
	v_mov_b32_e32 v4, v3
	v_cmp_ne_u64_e32 vcc, 0, v[4:5]
                                        ; implicit-def: $vgpr4_vgpr5
	s_and_saveexec_b64 s[0:1], vcc
	s_xor_b64 s[4:5], exec, s[0:1]
	s_cbranch_execz .LBB64_22
; %bb.21:
	s_add_u32 s0, s10, s11
	s_mov_b32 s6, s11
	s_mov_b32 s7, s11
	s_addc_u32 s1, s11, s11
	s_xor_b64 s[8:9], s[0:1], s[6:7]
	v_cvt_f32_u32_e32 v2, s8
	v_cvt_f32_u32_e32 v4, s9
	s_sub_u32 s0, 0, s8
	s_subb_u32 s1, 0, s9
	v_fmamk_f32 v2, v4, 0x4f800000, v2
	v_rcp_f32_e32 v2, v2
	s_nop 0
	v_mul_f32_e32 v2, 0x5f7ffffc, v2
	v_mul_f32_e32 v4, 0x2f800000, v2
	v_trunc_f32_e32 v4, v4
	v_fmamk_f32 v2, v4, 0xcf800000, v2
	v_cvt_u32_f32_e32 v7, v4
	v_cvt_u32_f32_e32 v8, v2
	v_mul_lo_u32 v2, s0, v7
	v_mul_hi_u32 v5, s0, v8
	v_mul_lo_u32 v4, s1, v8
	v_add_u32_e32 v2, v5, v2
	v_mul_lo_u32 v9, s0, v8
	v_add_u32_e32 v10, v2, v4
	v_mul_hi_u32 v5, v8, v10
	v_mul_lo_u32 v4, v8, v10
	v_mul_hi_u32 v2, v8, v9
	v_lshl_add_u64 v[4:5], v[2:3], 0, v[4:5]
	v_mul_hi_u32 v2, v7, v9
	v_mul_lo_u32 v9, v7, v9
	v_add_co_u32_e32 v4, vcc, v4, v9
	v_mul_hi_u32 v11, v7, v10
	s_nop 0
	v_addc_co_u32_e32 v2, vcc, v5, v2, vcc
	v_mul_lo_u32 v4, v7, v10
	s_nop 0
	v_addc_co_u32_e32 v5, vcc, 0, v11, vcc
	v_lshl_add_u64 v[4:5], v[2:3], 0, v[4:5]
	v_add_co_u32_e32 v8, vcc, v8, v4
	v_mul_hi_u32 v4, s0, v8
	s_nop 0
	v_addc_co_u32_e32 v7, vcc, v7, v5, vcc
	v_mul_lo_u32 v2, s0, v7
	v_add_u32_e32 v2, v4, v2
	v_mul_lo_u32 v4, s1, v8
	v_add_u32_e32 v9, v2, v4
	v_mul_lo_u32 v2, s0, v8
	v_mul_hi_u32 v11, v7, v2
	v_mul_lo_u32 v12, v7, v2
	v_mul_hi_u32 v5, v8, v9
	;; [unrolled: 2-line block ×3, first 2 shown]
	v_lshl_add_u64 v[4:5], v[2:3], 0, v[4:5]
	v_add_co_u32_e32 v2, vcc, v4, v12
	v_mul_hi_u32 v10, v7, v9
	s_nop 0
	v_addc_co_u32_e32 v2, vcc, v5, v11, vcc
	v_mul_lo_u32 v4, v7, v9
	s_nop 0
	v_addc_co_u32_e32 v5, vcc, 0, v10, vcc
	v_lshl_add_u64 v[4:5], v[2:3], 0, v[4:5]
	v_add_co_u32_e32 v10, vcc, v8, v4
	v_ashrrev_i32_e32 v4, 31, v1
	s_nop 0
	v_addc_co_u32_e32 v7, vcc, v7, v5, vcc
	v_mov_b32_e32 v5, v4
	v_lshl_add_u64 v[0:1], v[0:1], 0, v[4:5]
	v_xor_b32_e32 v12, v0, v4
	v_xor_b32_e32 v5, v1, v4
	v_mad_u64_u32 v[0:1], s[0:1], v12, v7, 0
	v_mul_hi_u32 v2, v12, v10
	v_lshl_add_u64 v[0:1], v[2:3], 0, v[0:1]
	v_mad_u64_u32 v[10:11], s[0:1], v5, v10, 0
	v_add_co_u32_e32 v0, vcc, v0, v10
	v_mad_u64_u32 v[8:9], s[0:1], v5, v7, 0
	s_nop 0
	v_addc_co_u32_e32 v2, vcc, v1, v11, vcc
	s_nop 1
	v_addc_co_u32_e32 v9, vcc, 0, v9, vcc
	v_lshl_add_u64 v[0:1], v[2:3], 0, v[8:9]
	v_mul_lo_u32 v7, s9, v0
	v_mul_lo_u32 v8, s8, v1
	v_mad_u64_u32 v[2:3], s[0:1], s8, v0, 0
	v_add3_u32 v7, v3, v8, v7
	v_sub_u32_e32 v3, v5, v7
	v_mov_b32_e32 v8, s9
	v_sub_co_u32_e32 v10, vcc, v12, v2
	s_nop 1
	v_subb_co_u32_e64 v2, s[0:1], v3, v8, vcc
	v_subrev_co_u32_e64 v3, s[0:1], s8, v10
	v_subb_co_u32_e32 v5, vcc, v5, v7, vcc
	s_nop 0
	v_subbrev_co_u32_e64 v2, s[0:1], 0, v2, s[0:1]
	v_cmp_le_u32_e64 s[0:1], s9, v2
	v_cmp_le_u32_e32 vcc, s9, v5
	s_nop 0
	v_cndmask_b32_e64 v8, 0, -1, s[0:1]
	v_cmp_le_u32_e64 s[0:1], s8, v3
	v_cndmask_b32_e64 v7, 0, -1, vcc
	v_cmp_le_u32_e32 vcc, s8, v10
	v_cndmask_b32_e64 v3, 0, -1, s[0:1]
	v_cmp_eq_u32_e64 s[0:1], s9, v2
	s_nop 1
	v_cndmask_b32_e64 v11, v8, v3, s[0:1]
	v_lshl_add_u64 v[2:3], v[0:1], 0, 2
	v_lshl_add_u64 v[8:9], v[0:1], 0, 1
	v_cmp_ne_u32_e64 s[0:1], 0, v11
	s_nop 1
	v_cndmask_b32_e64 v3, v9, v3, s[0:1]
	v_cndmask_b32_e64 v9, 0, -1, vcc
	v_cmp_eq_u32_e32 vcc, s9, v5
	v_cndmask_b32_e64 v2, v8, v2, s[0:1]
                                        ; implicit-def: $vgpr8
	s_nop 0
	v_cndmask_b32_e32 v5, v7, v9, vcc
	v_cmp_ne_u32_e32 vcc, 0, v5
	s_nop 1
	v_cndmask_b32_e32 v1, v1, v3, vcc
	v_cndmask_b32_e32 v0, v0, v2, vcc
	v_xor_b32_e32 v3, s6, v4
	v_xor_b32_e32 v2, s7, v4
	;; [unrolled: 1-line block ×4, first 2 shown]
	v_sub_co_u32_e32 v4, vcc, v0, v3
	s_nop 1
	v_subb_co_u32_e32 v5, vcc, v1, v2, vcc
                                        ; implicit-def: $vgpr0_vgpr1
.LBB64_22:
	s_andn2_saveexec_b64 s[0:1], s[4:5]
	s_cbranch_execz .LBB64_24
; %bb.23:
	v_rcp_iflag_f32_e32 v1, v8
	s_sub_i32 s4, 0, s10
	v_mov_b32_e32 v5, 0
	v_mul_f32_e32 v1, 0x4f7ffffe, v1
	v_cvt_u32_f32_e32 v1, v1
	v_mul_lo_u32 v2, s4, v1
	v_mul_hi_u32 v2, v1, v2
	v_add_u32_e32 v1, v1, v2
	v_mul_hi_u32 v1, v0, v1
	v_mul_lo_u32 v2, v1, s10
	v_sub_u32_e32 v0, v0, v2
	v_add_u32_e32 v3, 1, v1
	v_subrev_u32_e32 v2, s10, v0
	v_cmp_le_u32_e32 vcc, s10, v0
	s_nop 1
	v_cndmask_b32_e32 v0, v0, v2, vcc
	v_cndmask_b32_e32 v1, v1, v3, vcc
	v_add_u32_e32 v2, 1, v1
	v_cmp_le_u32_e32 vcc, s10, v0
	s_nop 1
	v_cndmask_b32_e32 v4, v1, v2, vcc
.LBB64_24:
	s_or_b64 exec, exec, s[0:1]
	s_waitcnt lgkmcnt(0)
	v_lshl_add_u64 v[0:1], v[4:5], 2, s[2:3]
	s_waitcnt vmcnt(0)
	global_store_dword v[0:1], v6, off
.LBB64_25:
	s_endpgm
	.section	.rodata,"a",@progbits
	.p2align	6, 0x0
	.amdhsa_kernel _ZN4vllm38cp_gather_indexer_k_quant_cache_kernelILi16EEEvPKcPcS3_PKiS5_illllliii
		.amdhsa_group_segment_fixed_size 64
		.amdhsa_private_segment_fixed_size 0
		.amdhsa_kernarg_size 360
		.amdhsa_user_sgpr_count 2
		.amdhsa_user_sgpr_dispatch_ptr 0
		.amdhsa_user_sgpr_queue_ptr 0
		.amdhsa_user_sgpr_kernarg_segment_ptr 1
		.amdhsa_user_sgpr_dispatch_id 0
		.amdhsa_user_sgpr_kernarg_preload_length 0
		.amdhsa_user_sgpr_kernarg_preload_offset 0
		.amdhsa_user_sgpr_private_segment_size 0
		.amdhsa_uses_dynamic_stack 0
		.amdhsa_enable_private_segment 0
		.amdhsa_system_sgpr_workgroup_id_x 1
		.amdhsa_system_sgpr_workgroup_id_y 1
		.amdhsa_system_sgpr_workgroup_id_z 0
		.amdhsa_system_sgpr_workgroup_info 0
		.amdhsa_system_vgpr_workitem_id 1
		.amdhsa_next_free_vgpr 18
		.amdhsa_next_free_sgpr 26
		.amdhsa_accum_offset 20
		.amdhsa_reserve_vcc 1
		.amdhsa_float_round_mode_32 0
		.amdhsa_float_round_mode_16_64 0
		.amdhsa_float_denorm_mode_32 3
		.amdhsa_float_denorm_mode_16_64 3
		.amdhsa_dx10_clamp 1
		.amdhsa_ieee_mode 1
		.amdhsa_fp16_overflow 0
		.amdhsa_tg_split 0
		.amdhsa_exception_fp_ieee_invalid_op 0
		.amdhsa_exception_fp_denorm_src 0
		.amdhsa_exception_fp_ieee_div_zero 0
		.amdhsa_exception_fp_ieee_overflow 0
		.amdhsa_exception_fp_ieee_underflow 0
		.amdhsa_exception_fp_ieee_inexact 0
		.amdhsa_exception_int_div_zero 0
	.end_amdhsa_kernel
	.section	.text._ZN4vllm38cp_gather_indexer_k_quant_cache_kernelILi16EEEvPKcPcS3_PKiS5_illllliii,"axG",@progbits,_ZN4vllm38cp_gather_indexer_k_quant_cache_kernelILi16EEEvPKcPcS3_PKiS5_illllliii,comdat
.Lfunc_end64:
	.size	_ZN4vllm38cp_gather_indexer_k_quant_cache_kernelILi16EEEvPKcPcS3_PKiS5_illllliii, .Lfunc_end64-_ZN4vllm38cp_gather_indexer_k_quant_cache_kernelILi16EEEvPKcPcS3_PKiS5_illllliii
                                        ; -- End function
	.section	.AMDGPU.csdata,"",@progbits
; Kernel info:
; codeLenInByte = 3576
; NumSgprs: 32
; NumVgprs: 18
; NumAgprs: 0
; TotalNumVgprs: 18
; ScratchSize: 0
; MemoryBound: 0
; FloatMode: 240
; IeeeMode: 1
; LDSByteSize: 64 bytes/workgroup (compile time only)
; SGPRBlocks: 3
; VGPRBlocks: 2
; NumSGPRsForWavesPerEU: 32
; NumVGPRsForWavesPerEU: 18
; AccumOffset: 20
; Occupancy: 8
; WaveLimiterHint : 1
; COMPUTE_PGM_RSRC2:SCRATCH_EN: 0
; COMPUTE_PGM_RSRC2:USER_SGPR: 2
; COMPUTE_PGM_RSRC2:TRAP_HANDLER: 0
; COMPUTE_PGM_RSRC2:TGID_X_EN: 1
; COMPUTE_PGM_RSRC2:TGID_Y_EN: 1
; COMPUTE_PGM_RSRC2:TGID_Z_EN: 0
; COMPUTE_PGM_RSRC2:TIDIG_COMP_CNT: 1
; COMPUTE_PGM_RSRC3_GFX90A:ACCUM_OFFSET: 4
; COMPUTE_PGM_RSRC3_GFX90A:TG_SPLIT: 0
	.section	.text._ZN4vllm38cp_gather_indexer_k_quant_cache_kernelILi32EEEvPKcPcS3_PKiS5_illllliii,"axG",@progbits,_ZN4vllm38cp_gather_indexer_k_quant_cache_kernelILi32EEEvPKcPcS3_PKiS5_illllliii,comdat
	.protected	_ZN4vllm38cp_gather_indexer_k_quant_cache_kernelILi32EEEvPKcPcS3_PKiS5_illllliii ; -- Begin function _ZN4vllm38cp_gather_indexer_k_quant_cache_kernelILi32EEEvPKcPcS3_PKiS5_illllliii
	.globl	_ZN4vllm38cp_gather_indexer_k_quant_cache_kernelILi32EEEvPKcPcS3_PKiS5_illllliii
	.p2align	8
	.type	_ZN4vllm38cp_gather_indexer_k_quant_cache_kernelILi32EEEvPKcPcS3_PKiS5_illllliii,@function
_ZN4vllm38cp_gather_indexer_k_quant_cache_kernelILi32EEEvPKcPcS3_PKiS5_illllliii: ; @_ZN4vllm38cp_gather_indexer_k_quant_cache_kernelILi32EEEvPKcPcS3_PKiS5_illllliii
; %bb.0:
	s_load_dwordx2 s[6:7], s[0:1], 0x20
	s_load_dword s10, s[0:1], 0x74
	v_bfe_u32 v1, v0, 10, 10
	v_and_b32_e32 v5, 0x3ff, v0
	v_cmp_eq_u32_e64 s[4:5], 0, v5
	v_lshlrev_b32_e32 v4, 2, v1
	s_and_saveexec_b64 s[8:9], s[4:5]
	s_cbranch_execz .LBB65_2
; %bb.1:
	v_mov_b32_e32 v0, -1
	ds_write_b32 v4, v0
.LBB65_2:
	s_or_b64 exec, exec, s[8:9]
	s_waitcnt lgkmcnt(0)
	s_lshr_b32 s8, s10, 16
	s_and_b32 s10, s10, 0xffff
	v_cvt_f32_u32_e32 v0, s10
	s_load_dword s11, s[0:1], 0x28
	s_mul_i32 s2, s2, s8
	s_sub_i32 s9, 0, s10
	v_rcp_iflag_f32_e32 v0, v0
	v_add_u32_e32 v8, s2, v1
	s_waitcnt lgkmcnt(0)
	s_add_i32 s2, s11, s10
	s_add_i32 s2, s2, -1
	v_mul_f32_e32 v0, 0x4f7ffffe, v0
	v_cvt_u32_f32_e32 v0, v0
	s_ashr_i32 s8, s2, 31
	s_abs_i32 s2, s2
	v_readfirstlane_b32 s12, v0
	s_mul_i32 s9, s9, s12
	s_mul_hi_u32 s9, s12, s9
	s_add_i32 s12, s12, s9
	s_mul_hi_u32 s9, s2, s12
	s_mul_i32 s12, s9, s10
	s_sub_i32 s2, s2, s12
	s_add_i32 s12, s9, 1
	s_sub_i32 s13, s2, s10
	s_cmp_ge_u32 s2, s10
	s_cselect_b32 s9, s12, s9
	s_cselect_b32 s2, s13, s2
	s_add_i32 s12, s9, 1
	s_cmp_ge_u32 s2, s10
	s_cselect_b32 s2, s12, s9
	s_xor_b32 s2, s2, s8
	s_sub_i32 s2, s2, s8
	s_cmp_lt_i32 s2, 1
	s_barrier
	s_cbranch_scc1 .LBB65_9
; %bb.3:
	v_mov_b32_e32 v0, v5
	s_branch .LBB65_5
.LBB65_4:                               ;   in Loop: Header=BB65_5 Depth=1
	s_or_b64 exec, exec, s[8:9]
	s_add_i32 s2, s2, -1
	s_cmp_eq_u32 s2, 0
	v_add_u32_e32 v0, s10, v0
	s_cbranch_scc1 .LBB65_9
.LBB65_5:                               ; =>This Inner Loop Header: Depth=1
	v_cmp_gt_i32_e32 vcc, s11, v0
	s_and_saveexec_b64 s[8:9], vcc
	s_cbranch_execz .LBB65_4
; %bb.6:                                ;   in Loop: Header=BB65_5 Depth=1
	v_ashrrev_i32_e32 v1, 31, v0
	v_lshl_add_u64 v[2:3], v[0:1], 2, s[6:7]
	global_load_dword v1, v[2:3], off
	s_waitcnt vmcnt(0)
	v_cmp_ge_i32_e32 vcc, v8, v1
	s_and_b64 exec, exec, vcc
	s_cbranch_execz .LBB65_4
; %bb.7:                                ;   in Loop: Header=BB65_5 Depth=1
	global_load_dword v1, v[2:3], off offset:4
	s_waitcnt vmcnt(0)
	v_cmp_lt_i32_e32 vcc, v8, v1
	s_and_b64 exec, exec, vcc
	s_cbranch_execz .LBB65_4
; %bb.8:                                ;   in Loop: Header=BB65_5 Depth=1
	ds_write_b32 v4, v0
	s_branch .LBB65_4
.LBB65_9:
	s_load_dwordx4 s[12:15], s[0:1], 0x30
	s_mul_i32 s3, s3, s10
	v_add_lshl_u32 v0, s3, v5, 4
	v_ashrrev_i32_e32 v1, 31, v0
	s_waitcnt lgkmcnt(0)
	v_cmp_gt_i64_e32 vcc, s[14:15], v[0:1]
	s_barrier
	s_and_saveexec_b64 s[2:3], vcc
	s_cbranch_execz .LBB65_25
; %bb.10:
	s_load_dwordx4 s[8:11], s[0:1], 0x58
	ds_read_b32 v2, v4
	s_waitcnt lgkmcnt(0)
	v_cmp_gt_i32_e32 vcc, s9, v8
	v_cmp_lt_i32_e64 s[2:3], -1, v2
	s_and_b64 s[2:3], vcc, s[2:3]
	s_and_b64 exec, exec, s[2:3]
	s_cbranch_execz .LBB65_25
; %bb.11:
	v_mov_b32_e32 v3, 0
	v_lshl_add_u64 v[4:5], v[2:3], 2, s[6:7]
	global_load_dword v4, v[4:5], off
	s_load_dwordx2 s[6:7], s[0:1], 0x50
	s_load_dwordx2 s[22:23], s[0:1], 0x18
	;; [unrolled: 1-line block ×3, first 2 shown]
	v_mov_b32_e32 v6, v3
	s_waitcnt vmcnt(0)
	v_sub_u32_e32 v4, v8, v4
	v_ashrrev_i32_e32 v5, 31, v4
	s_waitcnt lgkmcnt(0)
	v_or_b32_e32 v7, s7, v5
	v_cmp_ne_u64_e32 vcc, 0, v[6:7]
                                        ; implicit-def: $vgpr6_vgpr7
	s_and_saveexec_b64 s[2:3], vcc
	s_xor_b64 s[16:17], exec, s[2:3]
	s_cbranch_execz .LBB65_13
; %bb.12:
	s_ashr_i32 s18, s7, 31
	s_add_u32 s2, s6, s18
	s_mov_b32 s19, s18
	s_addc_u32 s3, s7, s18
	s_xor_b64 s[24:25], s[2:3], s[18:19]
	v_cvt_f32_u32_e32 v6, s24
	v_cvt_f32_u32_e32 v7, s25
	s_sub_u32 s2, 0, s24
	s_subb_u32 s3, 0, s25
	v_mov_b32_e32 v11, v3
	v_fmamk_f32 v6, v7, 0x4f800000, v6
	v_rcp_f32_e32 v6, v6
	s_nop 0
	v_mul_f32_e32 v6, 0x5f7ffffc, v6
	v_mul_f32_e32 v7, 0x2f800000, v6
	v_trunc_f32_e32 v7, v7
	v_fmamk_f32 v6, v7, 0xcf800000, v6
	v_cvt_u32_f32_e32 v9, v7
	v_cvt_u32_f32_e32 v12, v6
	v_mul_lo_u32 v6, s2, v9
	v_mul_hi_u32 v10, s2, v12
	v_mul_lo_u32 v7, s3, v12
	v_add_u32_e32 v6, v10, v6
	v_mul_lo_u32 v13, s2, v12
	v_add_u32_e32 v14, v6, v7
	v_mul_hi_u32 v7, v12, v14
	v_mul_lo_u32 v6, v12, v14
	v_mul_hi_u32 v10, v12, v13
	v_lshl_add_u64 v[6:7], v[10:11], 0, v[6:7]
	v_mul_hi_u32 v11, v9, v13
	v_mul_lo_u32 v13, v9, v13
	v_add_co_u32_e32 v6, vcc, v6, v13
	v_mul_hi_u32 v10, v9, v14
	s_nop 0
	v_addc_co_u32_e32 v6, vcc, v7, v11, vcc
	v_mov_b32_e32 v7, v3
	s_nop 0
	v_addc_co_u32_e32 v11, vcc, 0, v10, vcc
	v_mul_lo_u32 v10, v9, v14
	v_lshl_add_u64 v[6:7], v[6:7], 0, v[10:11]
	v_add_co_u32_e32 v12, vcc, v12, v6
	v_mul_lo_u32 v10, s2, v12
	s_nop 0
	v_addc_co_u32_e32 v9, vcc, v9, v7, vcc
	v_mul_lo_u32 v6, s2, v9
	v_mul_hi_u32 v7, s2, v12
	v_add_u32_e32 v6, v7, v6
	v_mul_lo_u32 v7, s3, v12
	v_add_u32_e32 v13, v6, v7
	v_mul_hi_u32 v15, v9, v10
	v_mul_lo_u32 v16, v9, v10
	v_mul_hi_u32 v7, v12, v13
	v_mul_lo_u32 v6, v12, v13
	v_mul_hi_u32 v10, v12, v10
	v_mov_b32_e32 v11, v3
	v_lshl_add_u64 v[6:7], v[10:11], 0, v[6:7]
	v_add_co_u32_e32 v6, vcc, v6, v16
	v_mul_hi_u32 v14, v9, v13
	s_nop 0
	v_addc_co_u32_e32 v6, vcc, v7, v15, vcc
	v_mul_lo_u32 v10, v9, v13
	s_nop 0
	v_addc_co_u32_e32 v11, vcc, 0, v14, vcc
	v_mov_b32_e32 v7, v3
	v_lshl_add_u64 v[6:7], v[6:7], 0, v[10:11]
	v_add_co_u32_e32 v14, vcc, v12, v6
	v_mov_b32_e32 v6, v5
	s_nop 0
	v_addc_co_u32_e32 v9, vcc, v9, v7, vcc
	v_mov_b32_e32 v7, v5
	v_lshl_add_u64 v[10:11], v[4:5], 0, v[6:7]
	v_xor_b32_e32 v17, v10, v6
	v_xor_b32_e32 v16, v11, v7
	v_mad_u64_u32 v[10:11], s[2:3], v17, v9, 0
	v_mul_hi_u32 v12, v17, v14
	v_mov_b32_e32 v13, v3
	v_lshl_add_u64 v[10:11], v[12:13], 0, v[10:11]
	v_mad_u64_u32 v[14:15], s[2:3], v16, v14, 0
	v_mad_u64_u32 v[12:13], s[2:3], v16, v9, 0
	v_add_co_u32_e32 v9, vcc, v10, v14
	v_xor_b32_e32 v6, s18, v6
	s_nop 0
	v_addc_co_u32_e32 v10, vcc, v11, v15, vcc
	v_mov_b32_e32 v11, v3
	s_nop 0
	v_addc_co_u32_e32 v13, vcc, 0, v13, vcc
	v_lshl_add_u64 v[10:11], v[10:11], 0, v[12:13]
	v_mul_lo_u32 v3, s25, v10
	v_mul_lo_u32 v9, s24, v11
	v_mad_u64_u32 v[12:13], s[2:3], s24, v10, 0
	v_add3_u32 v3, v13, v9, v3
	v_sub_u32_e32 v9, v16, v3
	v_mov_b32_e32 v13, s25
	v_sub_co_u32_e32 v17, vcc, v17, v12
	v_lshl_add_u64 v[14:15], v[10:11], 0, 1
	s_nop 0
	v_subb_co_u32_e64 v9, s[2:3], v9, v13, vcc
	v_subrev_co_u32_e64 v12, s[2:3], s24, v17
	v_subb_co_u32_e32 v3, vcc, v16, v3, vcc
	s_nop 0
	v_subbrev_co_u32_e64 v9, s[2:3], 0, v9, s[2:3]
	v_cmp_le_u32_e64 s[2:3], s25, v9
	v_cmp_le_u32_e32 vcc, s25, v3
	v_xor_b32_e32 v7, s18, v7
	v_cndmask_b32_e64 v13, 0, -1, s[2:3]
	v_cmp_le_u32_e64 s[2:3], s24, v12
	s_nop 1
	v_cndmask_b32_e64 v12, 0, -1, s[2:3]
	v_cmp_eq_u32_e64 s[2:3], s25, v9
	s_nop 1
	v_cndmask_b32_e64 v9, v13, v12, s[2:3]
	v_lshl_add_u64 v[12:13], v[10:11], 0, 2
	v_cmp_ne_u32_e64 s[2:3], 0, v9
	s_nop 1
	v_cndmask_b32_e64 v9, v15, v13, s[2:3]
	v_cndmask_b32_e64 v13, 0, -1, vcc
	v_cmp_le_u32_e32 vcc, s24, v17
	s_nop 1
	v_cndmask_b32_e64 v15, 0, -1, vcc
	v_cmp_eq_u32_e32 vcc, s25, v3
	s_nop 1
	v_cndmask_b32_e32 v3, v13, v15, vcc
	v_cmp_ne_u32_e32 vcc, 0, v3
	s_nop 1
	v_cndmask_b32_e32 v3, v11, v9, vcc
	v_cndmask_b32_e64 v9, v14, v12, s[2:3]
	v_cndmask_b32_e32 v9, v10, v9, vcc
	v_xor_b32_e32 v9, v9, v6
	v_xor_b32_e32 v3, v3, v7
	v_sub_co_u32_e32 v6, vcc, v9, v6
	s_nop 1
	v_subb_co_u32_e32 v7, vcc, v3, v7, vcc
.LBB65_13:
	s_or_saveexec_b64 s[2:3], s[16:17]
	s_load_dwordx4 s[16:19], s[0:1], 0x0
	s_xor_b64 exec, exec, s[2:3]
	s_cbranch_execz .LBB65_15
; %bb.14:
	v_cvt_f32_u32_e32 v3, s6
	s_sub_i32 s9, 0, s6
	v_rcp_iflag_f32_e32 v3, v3
	s_nop 0
	v_mul_f32_e32 v3, 0x4f7ffffe, v3
	v_cvt_u32_f32_e32 v3, v3
	v_mul_lo_u32 v6, s9, v3
	v_mul_hi_u32 v6, v3, v6
	v_add_u32_e32 v3, v3, v6
	v_mul_hi_u32 v3, v4, v3
	v_mul_lo_u32 v6, v3, s6
	v_sub_u32_e32 v6, v4, v6
	v_add_u32_e32 v7, 1, v3
	v_subrev_u32_e32 v9, s6, v6
	v_cmp_le_u32_e32 vcc, s6, v6
	s_nop 1
	v_cndmask_b32_e32 v6, v6, v9, vcc
	v_cndmask_b32_e32 v3, v3, v7, vcc
	v_add_u32_e32 v7, 1, v3
	v_cmp_le_u32_e32 vcc, s6, v6
	s_nop 1
	v_cndmask_b32_e32 v6, v3, v7, vcc
	v_mov_b32_e32 v7, 0
.LBB65_15:
	s_or_b64 exec, exec, s[2:3]
	v_mul_lo_u32 v2, v2, s8
	v_ashrrev_i32_e32 v3, 31, v2
	v_lshl_add_u64 v[10:11], v[6:7], 2, s[22:23]
	v_lshl_add_u64 v[2:3], v[2:3], 2, v[10:11]
	global_load_dword v2, v[2:3], off
	v_mul_lo_u32 v3, v7, s6
	v_mul_lo_u32 v9, v6, s7
	v_mad_u64_u32 v[6:7], s[2:3], v6, s6, 0
	v_add3_u32 v3, v7, v9, v3
	v_sub_co_u32_e32 v4, vcc, v4, v6
	v_mul_lo_u32 v6, v4, s15
	s_nop 0
	v_subb_co_u32_e32 v3, vcc, v5, v3, vcc
	v_mad_u64_u32 v[4:5], s[2:3], v4, s14, v[0:1]
	v_mul_lo_u32 v3, v3, s14
	v_add3_u32 v5, v3, v5, v6
	v_mov_b32_e32 v7, 0
	v_mad_u64_u32 v[0:1], s[2:3], v8, s12, v[0:1]
	s_waitcnt vmcnt(0)
	v_ashrrev_i32_e32 v3, 31, v2
	v_mul_lo_u32 v9, v2, s21
	v_mad_u64_u32 v[12:13], s[2:3], v2, s20, v[4:5]
	v_mul_lo_u32 v10, v3, s20
	v_add3_u32 v13, v10, v13, v9
	v_ashrrev_i32_e32 v3, 31, v13
	v_lshrrev_b32_e32 v6, 28, v3
	v_lshl_add_u64 v[12:13], v[12:13], 0, v[6:7]
	v_and_b32_e32 v12, -16, v12
	s_waitcnt lgkmcnt(0)
	v_lshl_add_u64 v[12:13], s[16:17], 0, v[12:13]
	global_load_dwordx4 v[12:15], v[12:13], off
	v_ashrrev_i32_e32 v3, 31, v8
	v_mul_lo_u32 v6, v8, s13
	v_mul_lo_u32 v3, v3, s12
	v_add3_u32 v1, v3, v1, v6
	v_ashrrev_i32_e32 v3, 31, v1
	v_lshrrev_b32_e32 v6, 28, v3
	v_lshl_add_u64 v[16:17], v[0:1], 0, v[6:7]
	v_and_b32_e32 v16, -16, v16
	v_lshl_add_u64 v[16:17], s[18:19], 0, v[16:17]
	s_waitcnt vmcnt(0)
	global_store_dwordx4 v[16:17], v[12:15], off
	s_and_b64 exec, exec, s[4:5]
	s_cbranch_execz .LBB65_25
; %bb.16:
	v_mad_u64_u32 v[2:3], s[2:3], v2, s20, 0
	v_lshlrev_b64 v[4:5], 2, v[4:5]
	s_ashr_i32 s11, s10, 31
	v_add3_u32 v3, v3, v9, v10
	v_or_b32_e32 v9, s11, v5
	v_mov_b32_e32 v8, v7
	v_cmp_ne_u64_e32 vcc, 0, v[8:9]
                                        ; implicit-def: $vgpr6_vgpr7
	s_and_saveexec_b64 s[2:3], vcc
	s_xor_b64 s[4:5], exec, s[2:3]
	s_cbranch_execz .LBB65_18
; %bb.17:
	s_add_u32 s2, s10, s11
	s_mov_b32 s8, s11
	s_mov_b32 s9, s11
	s_addc_u32 s3, s11, s11
	s_xor_b64 s[12:13], s[2:3], s[8:9]
	v_cvt_f32_u32_e32 v6, s12
	v_cvt_f32_u32_e32 v7, s13
	s_sub_u32 s2, 0, s12
	s_subb_u32 s3, 0, s13
	v_mov_b32_e32 v9, 0
	v_fmamk_f32 v6, v7, 0x4f800000, v6
	v_rcp_f32_e32 v6, v6
	s_nop 0
	v_mul_f32_e32 v6, 0x5f7ffffc, v6
	v_mul_f32_e32 v7, 0x2f800000, v6
	v_trunc_f32_e32 v7, v7
	v_fmamk_f32 v6, v7, 0xcf800000, v6
	v_cvt_u32_f32_e32 v10, v7
	v_cvt_u32_f32_e32 v11, v6
	v_mul_lo_u32 v6, s2, v10
	v_mul_hi_u32 v8, s2, v11
	v_mul_lo_u32 v7, s3, v11
	v_add_u32_e32 v6, v8, v6
	v_mul_lo_u32 v12, s2, v11
	v_add_u32_e32 v13, v6, v7
	v_mul_hi_u32 v7, v11, v13
	v_mul_lo_u32 v6, v11, v13
	v_mul_hi_u32 v8, v11, v12
	v_lshl_add_u64 v[6:7], v[8:9], 0, v[6:7]
	v_mul_hi_u32 v8, v10, v12
	v_mul_lo_u32 v12, v10, v12
	v_add_co_u32_e32 v6, vcc, v6, v12
	v_mul_hi_u32 v14, v10, v13
	s_nop 0
	v_addc_co_u32_e32 v8, vcc, v7, v8, vcc
	v_mul_lo_u32 v6, v10, v13
	s_nop 0
	v_addc_co_u32_e32 v7, vcc, 0, v14, vcc
	v_lshl_add_u64 v[6:7], v[8:9], 0, v[6:7]
	v_add_co_u32_e32 v11, vcc, v11, v6
	v_mul_lo_u32 v8, s2, v11
	s_nop 0
	v_addc_co_u32_e32 v10, vcc, v10, v7, vcc
	v_mul_lo_u32 v6, s2, v10
	v_mul_hi_u32 v7, s2, v11
	v_add_u32_e32 v6, v7, v6
	v_mul_lo_u32 v7, s3, v11
	v_add_u32_e32 v12, v6, v7
	v_mul_hi_u32 v14, v10, v8
	v_mul_lo_u32 v15, v10, v8
	v_mul_hi_u32 v7, v11, v12
	v_mul_lo_u32 v6, v11, v12
	v_mul_hi_u32 v8, v11, v8
	v_lshl_add_u64 v[6:7], v[8:9], 0, v[6:7]
	v_add_co_u32_e32 v6, vcc, v6, v15
	v_mul_hi_u32 v13, v10, v12
	s_nop 0
	v_addc_co_u32_e32 v8, vcc, v7, v14, vcc
	v_mul_lo_u32 v6, v10, v12
	s_nop 0
	v_addc_co_u32_e32 v7, vcc, 0, v13, vcc
	v_lshl_add_u64 v[6:7], v[8:9], 0, v[6:7]
	v_add_co_u32_e32 v12, vcc, v11, v6
	v_ashrrev_i32_e32 v6, 31, v5
	s_nop 0
	v_addc_co_u32_e32 v10, vcc, v10, v7, vcc
	v_mov_b32_e32 v7, v6
	v_lshl_add_u64 v[4:5], v[4:5], 0, v[6:7]
	v_xor_b32_e32 v14, v4, v6
	v_xor_b32_e32 v7, v5, v6
	v_mad_u64_u32 v[4:5], s[2:3], v14, v10, 0
	v_mul_hi_u32 v8, v14, v12
	v_lshl_add_u64 v[4:5], v[8:9], 0, v[4:5]
	v_mad_u64_u32 v[12:13], s[2:3], v7, v12, 0
	v_add_co_u32_e32 v4, vcc, v4, v12
	v_mad_u64_u32 v[10:11], s[2:3], v7, v10, 0
	s_nop 0
	v_addc_co_u32_e32 v8, vcc, v5, v13, vcc
	s_nop 1
	v_addc_co_u32_e32 v11, vcc, 0, v11, vcc
	v_lshl_add_u64 v[4:5], v[8:9], 0, v[10:11]
	v_mul_lo_u32 v10, s13, v4
	v_mul_lo_u32 v11, s12, v5
	v_mad_u64_u32 v[8:9], s[2:3], s12, v4, 0
	v_add3_u32 v12, v9, v11, v10
	v_sub_u32_e32 v9, v7, v12
	v_mov_b32_e32 v10, s13
	v_sub_co_u32_e32 v13, vcc, v14, v8
	s_nop 1
	v_subb_co_u32_e64 v8, s[2:3], v9, v10, vcc
	v_subrev_co_u32_e64 v9, s[2:3], s12, v13
	v_subb_co_u32_e32 v7, vcc, v7, v12, vcc
	s_nop 0
	v_subbrev_co_u32_e64 v8, s[2:3], 0, v8, s[2:3]
	v_cmp_le_u32_e64 s[2:3], s13, v8
	v_cmp_le_u32_e32 vcc, s13, v7
	s_nop 0
	v_cndmask_b32_e64 v10, 0, -1, s[2:3]
	v_cmp_le_u32_e64 s[2:3], s12, v9
	s_nop 1
	v_cndmask_b32_e64 v9, 0, -1, s[2:3]
	v_cmp_eq_u32_e64 s[2:3], s13, v8
	s_nop 1
	v_cndmask_b32_e64 v14, v10, v9, s[2:3]
	v_lshl_add_u64 v[8:9], v[4:5], 0, 2
	v_lshl_add_u64 v[10:11], v[4:5], 0, 1
	v_cmp_ne_u32_e64 s[2:3], 0, v14
	s_nop 1
	v_cndmask_b32_e64 v9, v11, v9, s[2:3]
	v_cndmask_b32_e64 v11, 0, -1, vcc
	v_cmp_le_u32_e32 vcc, s12, v13
	s_nop 1
	v_cndmask_b32_e64 v12, 0, -1, vcc
	v_cmp_eq_u32_e32 vcc, s13, v7
	s_nop 1
	v_cndmask_b32_e32 v7, v11, v12, vcc
	v_cmp_ne_u32_e32 vcc, 0, v7
	v_cndmask_b32_e64 v7, v10, v8, s[2:3]
	s_nop 0
	v_cndmask_b32_e32 v4, v4, v7, vcc
	v_xor_b32_e32 v7, s9, v6
	v_xor_b32_e32 v6, s8, v6
	v_cndmask_b32_e32 v5, v5, v9, vcc
	v_xor_b32_e32 v4, v4, v6
	v_xor_b32_e32 v5, v5, v7
	v_sub_co_u32_e32 v6, vcc, v4, v6
	s_nop 1
	v_subb_co_u32_e32 v7, vcc, v5, v7, vcc
                                        ; implicit-def: $vgpr4_vgpr5
.LBB65_18:
	s_or_saveexec_b64 s[2:3], s[4:5]
	v_cvt_f32_u32_e32 v8, s10
	s_xor_b64 exec, exec, s[2:3]
	s_cbranch_execz .LBB65_20
; %bb.19:
	v_rcp_iflag_f32_e32 v5, v8
	s_sub_i32 s4, 0, s10
	v_mul_f32_e32 v5, 0x4f7ffffe, v5
	v_cvt_u32_f32_e32 v5, v5
	v_mul_lo_u32 v6, s4, v5
	v_mul_hi_u32 v6, v5, v6
	v_add_u32_e32 v5, v5, v6
	v_mul_hi_u32 v5, v4, v5
	v_mul_lo_u32 v6, v5, s10
	v_sub_u32_e32 v4, v4, v6
	v_add_u32_e32 v7, 1, v5
	v_subrev_u32_e32 v6, s10, v4
	v_cmp_le_u32_e32 vcc, s10, v4
	s_nop 1
	v_cndmask_b32_e32 v4, v4, v6, vcc
	v_cndmask_b32_e32 v5, v5, v7, vcc
	v_add_u32_e32 v6, 1, v5
	v_cmp_le_u32_e32 vcc, s10, v4
	v_mov_b32_e32 v7, 0
	s_nop 0
	v_cndmask_b32_e32 v6, v5, v6, vcc
.LBB65_20:
	s_or_b64 exec, exec, s[2:3]
	s_mul_i32 s2, s7, s14
	s_mul_i32 s3, s6, s15
	v_mov_b32_e32 v4, s14
	s_add_i32 s4, s3, s2
	v_mad_u64_u32 v[2:3], s[2:3], s6, v4, v[2:3]
	v_add_u32_e32 v3, s4, v3
	v_lshl_add_u64 v[4:5], v[2:3], 0, v[6:7]
	v_ashrrev_i32_e32 v2, 31, v5
	v_lshrrev_b32_e32 v2, 30, v2
	v_mov_b32_e32 v3, 0
	v_lshl_add_u64 v[4:5], v[4:5], 0, v[2:3]
	v_and_b32_e32 v4, -4, v4
	v_lshl_add_u64 v[4:5], s[16:17], 0, v[4:5]
	global_load_dword v6, v[4:5], off
	s_load_dwordx2 s[2:3], s[0:1], 0x10
	v_or_b32_e32 v5, s11, v1
	v_mov_b32_e32 v4, v3
	v_cmp_ne_u64_e32 vcc, 0, v[4:5]
                                        ; implicit-def: $vgpr4_vgpr5
	s_and_saveexec_b64 s[0:1], vcc
	s_xor_b64 s[4:5], exec, s[0:1]
	s_cbranch_execz .LBB65_22
; %bb.21:
	s_add_u32 s0, s10, s11
	s_mov_b32 s6, s11
	s_mov_b32 s7, s11
	s_addc_u32 s1, s11, s11
	s_xor_b64 s[8:9], s[0:1], s[6:7]
	v_cvt_f32_u32_e32 v2, s8
	v_cvt_f32_u32_e32 v4, s9
	s_sub_u32 s0, 0, s8
	s_subb_u32 s1, 0, s9
	v_fmamk_f32 v2, v4, 0x4f800000, v2
	v_rcp_f32_e32 v2, v2
	s_nop 0
	v_mul_f32_e32 v2, 0x5f7ffffc, v2
	v_mul_f32_e32 v4, 0x2f800000, v2
	v_trunc_f32_e32 v4, v4
	v_fmamk_f32 v2, v4, 0xcf800000, v2
	v_cvt_u32_f32_e32 v7, v4
	v_cvt_u32_f32_e32 v8, v2
	v_mul_lo_u32 v2, s0, v7
	v_mul_hi_u32 v5, s0, v8
	v_mul_lo_u32 v4, s1, v8
	v_add_u32_e32 v2, v5, v2
	v_mul_lo_u32 v9, s0, v8
	v_add_u32_e32 v10, v2, v4
	v_mul_hi_u32 v5, v8, v10
	v_mul_lo_u32 v4, v8, v10
	v_mul_hi_u32 v2, v8, v9
	v_lshl_add_u64 v[4:5], v[2:3], 0, v[4:5]
	v_mul_hi_u32 v2, v7, v9
	v_mul_lo_u32 v9, v7, v9
	v_add_co_u32_e32 v4, vcc, v4, v9
	v_mul_hi_u32 v11, v7, v10
	s_nop 0
	v_addc_co_u32_e32 v2, vcc, v5, v2, vcc
	v_mul_lo_u32 v4, v7, v10
	s_nop 0
	v_addc_co_u32_e32 v5, vcc, 0, v11, vcc
	v_lshl_add_u64 v[4:5], v[2:3], 0, v[4:5]
	v_add_co_u32_e32 v8, vcc, v8, v4
	v_mul_hi_u32 v4, s0, v8
	s_nop 0
	v_addc_co_u32_e32 v7, vcc, v7, v5, vcc
	v_mul_lo_u32 v2, s0, v7
	v_add_u32_e32 v2, v4, v2
	v_mul_lo_u32 v4, s1, v8
	v_add_u32_e32 v9, v2, v4
	v_mul_lo_u32 v2, s0, v8
	v_mul_hi_u32 v11, v7, v2
	v_mul_lo_u32 v12, v7, v2
	v_mul_hi_u32 v5, v8, v9
	;; [unrolled: 2-line block ×3, first 2 shown]
	v_lshl_add_u64 v[4:5], v[2:3], 0, v[4:5]
	v_add_co_u32_e32 v2, vcc, v4, v12
	v_mul_hi_u32 v10, v7, v9
	s_nop 0
	v_addc_co_u32_e32 v2, vcc, v5, v11, vcc
	v_mul_lo_u32 v4, v7, v9
	s_nop 0
	v_addc_co_u32_e32 v5, vcc, 0, v10, vcc
	v_lshl_add_u64 v[4:5], v[2:3], 0, v[4:5]
	v_add_co_u32_e32 v10, vcc, v8, v4
	v_ashrrev_i32_e32 v4, 31, v1
	s_nop 0
	v_addc_co_u32_e32 v7, vcc, v7, v5, vcc
	v_mov_b32_e32 v5, v4
	v_lshl_add_u64 v[0:1], v[0:1], 0, v[4:5]
	v_xor_b32_e32 v12, v0, v4
	v_xor_b32_e32 v5, v1, v4
	v_mad_u64_u32 v[0:1], s[0:1], v12, v7, 0
	v_mul_hi_u32 v2, v12, v10
	v_lshl_add_u64 v[0:1], v[2:3], 0, v[0:1]
	v_mad_u64_u32 v[10:11], s[0:1], v5, v10, 0
	v_add_co_u32_e32 v0, vcc, v0, v10
	v_mad_u64_u32 v[8:9], s[0:1], v5, v7, 0
	s_nop 0
	v_addc_co_u32_e32 v2, vcc, v1, v11, vcc
	s_nop 1
	v_addc_co_u32_e32 v9, vcc, 0, v9, vcc
	v_lshl_add_u64 v[0:1], v[2:3], 0, v[8:9]
	v_mul_lo_u32 v7, s9, v0
	v_mul_lo_u32 v8, s8, v1
	v_mad_u64_u32 v[2:3], s[0:1], s8, v0, 0
	v_add3_u32 v7, v3, v8, v7
	v_sub_u32_e32 v3, v5, v7
	v_mov_b32_e32 v8, s9
	v_sub_co_u32_e32 v10, vcc, v12, v2
	s_nop 1
	v_subb_co_u32_e64 v2, s[0:1], v3, v8, vcc
	v_subrev_co_u32_e64 v3, s[0:1], s8, v10
	v_subb_co_u32_e32 v5, vcc, v5, v7, vcc
	s_nop 0
	v_subbrev_co_u32_e64 v2, s[0:1], 0, v2, s[0:1]
	v_cmp_le_u32_e64 s[0:1], s9, v2
	v_cmp_le_u32_e32 vcc, s9, v5
	s_nop 0
	v_cndmask_b32_e64 v8, 0, -1, s[0:1]
	v_cmp_le_u32_e64 s[0:1], s8, v3
	v_cndmask_b32_e64 v7, 0, -1, vcc
	v_cmp_le_u32_e32 vcc, s8, v10
	v_cndmask_b32_e64 v3, 0, -1, s[0:1]
	v_cmp_eq_u32_e64 s[0:1], s9, v2
	s_nop 1
	v_cndmask_b32_e64 v11, v8, v3, s[0:1]
	v_lshl_add_u64 v[2:3], v[0:1], 0, 2
	v_lshl_add_u64 v[8:9], v[0:1], 0, 1
	v_cmp_ne_u32_e64 s[0:1], 0, v11
	s_nop 1
	v_cndmask_b32_e64 v3, v9, v3, s[0:1]
	v_cndmask_b32_e64 v9, 0, -1, vcc
	v_cmp_eq_u32_e32 vcc, s9, v5
	v_cndmask_b32_e64 v2, v8, v2, s[0:1]
                                        ; implicit-def: $vgpr8
	s_nop 0
	v_cndmask_b32_e32 v5, v7, v9, vcc
	v_cmp_ne_u32_e32 vcc, 0, v5
	s_nop 1
	v_cndmask_b32_e32 v1, v1, v3, vcc
	v_cndmask_b32_e32 v0, v0, v2, vcc
	v_xor_b32_e32 v3, s6, v4
	v_xor_b32_e32 v2, s7, v4
	;; [unrolled: 1-line block ×4, first 2 shown]
	v_sub_co_u32_e32 v4, vcc, v0, v3
	s_nop 1
	v_subb_co_u32_e32 v5, vcc, v1, v2, vcc
                                        ; implicit-def: $vgpr0_vgpr1
.LBB65_22:
	s_andn2_saveexec_b64 s[0:1], s[4:5]
	s_cbranch_execz .LBB65_24
; %bb.23:
	v_rcp_iflag_f32_e32 v1, v8
	s_sub_i32 s4, 0, s10
	v_mov_b32_e32 v5, 0
	v_mul_f32_e32 v1, 0x4f7ffffe, v1
	v_cvt_u32_f32_e32 v1, v1
	v_mul_lo_u32 v2, s4, v1
	v_mul_hi_u32 v2, v1, v2
	v_add_u32_e32 v1, v1, v2
	v_mul_hi_u32 v1, v0, v1
	v_mul_lo_u32 v2, v1, s10
	v_sub_u32_e32 v0, v0, v2
	v_add_u32_e32 v3, 1, v1
	v_subrev_u32_e32 v2, s10, v0
	v_cmp_le_u32_e32 vcc, s10, v0
	s_nop 1
	v_cndmask_b32_e32 v0, v0, v2, vcc
	v_cndmask_b32_e32 v1, v1, v3, vcc
	v_add_u32_e32 v2, 1, v1
	v_cmp_le_u32_e32 vcc, s10, v0
	s_nop 1
	v_cndmask_b32_e32 v4, v1, v2, vcc
.LBB65_24:
	s_or_b64 exec, exec, s[0:1]
	s_waitcnt lgkmcnt(0)
	v_lshl_add_u64 v[0:1], v[4:5], 2, s[2:3]
	s_waitcnt vmcnt(0)
	global_store_dword v[0:1], v6, off
.LBB65_25:
	s_endpgm
	.section	.rodata,"a",@progbits
	.p2align	6, 0x0
	.amdhsa_kernel _ZN4vllm38cp_gather_indexer_k_quant_cache_kernelILi32EEEvPKcPcS3_PKiS5_illllliii
		.amdhsa_group_segment_fixed_size 128
		.amdhsa_private_segment_fixed_size 0
		.amdhsa_kernarg_size 360
		.amdhsa_user_sgpr_count 2
		.amdhsa_user_sgpr_dispatch_ptr 0
		.amdhsa_user_sgpr_queue_ptr 0
		.amdhsa_user_sgpr_kernarg_segment_ptr 1
		.amdhsa_user_sgpr_dispatch_id 0
		.amdhsa_user_sgpr_kernarg_preload_length 0
		.amdhsa_user_sgpr_kernarg_preload_offset 0
		.amdhsa_user_sgpr_private_segment_size 0
		.amdhsa_uses_dynamic_stack 0
		.amdhsa_enable_private_segment 0
		.amdhsa_system_sgpr_workgroup_id_x 1
		.amdhsa_system_sgpr_workgroup_id_y 1
		.amdhsa_system_sgpr_workgroup_id_z 0
		.amdhsa_system_sgpr_workgroup_info 0
		.amdhsa_system_vgpr_workitem_id 1
		.amdhsa_next_free_vgpr 18
		.amdhsa_next_free_sgpr 26
		.amdhsa_accum_offset 20
		.amdhsa_reserve_vcc 1
		.amdhsa_float_round_mode_32 0
		.amdhsa_float_round_mode_16_64 0
		.amdhsa_float_denorm_mode_32 3
		.amdhsa_float_denorm_mode_16_64 3
		.amdhsa_dx10_clamp 1
		.amdhsa_ieee_mode 1
		.amdhsa_fp16_overflow 0
		.amdhsa_tg_split 0
		.amdhsa_exception_fp_ieee_invalid_op 0
		.amdhsa_exception_fp_denorm_src 0
		.amdhsa_exception_fp_ieee_div_zero 0
		.amdhsa_exception_fp_ieee_overflow 0
		.amdhsa_exception_fp_ieee_underflow 0
		.amdhsa_exception_fp_ieee_inexact 0
		.amdhsa_exception_int_div_zero 0
	.end_amdhsa_kernel
	.section	.text._ZN4vllm38cp_gather_indexer_k_quant_cache_kernelILi32EEEvPKcPcS3_PKiS5_illllliii,"axG",@progbits,_ZN4vllm38cp_gather_indexer_k_quant_cache_kernelILi32EEEvPKcPcS3_PKiS5_illllliii,comdat
.Lfunc_end65:
	.size	_ZN4vllm38cp_gather_indexer_k_quant_cache_kernelILi32EEEvPKcPcS3_PKiS5_illllliii, .Lfunc_end65-_ZN4vllm38cp_gather_indexer_k_quant_cache_kernelILi32EEEvPKcPcS3_PKiS5_illllliii
                                        ; -- End function
	.section	.AMDGPU.csdata,"",@progbits
; Kernel info:
; codeLenInByte = 3576
; NumSgprs: 32
; NumVgprs: 18
; NumAgprs: 0
; TotalNumVgprs: 18
; ScratchSize: 0
; MemoryBound: 0
; FloatMode: 240
; IeeeMode: 1
; LDSByteSize: 128 bytes/workgroup (compile time only)
; SGPRBlocks: 3
; VGPRBlocks: 2
; NumSGPRsForWavesPerEU: 32
; NumVGPRsForWavesPerEU: 18
; AccumOffset: 20
; Occupancy: 8
; WaveLimiterHint : 1
; COMPUTE_PGM_RSRC2:SCRATCH_EN: 0
; COMPUTE_PGM_RSRC2:USER_SGPR: 2
; COMPUTE_PGM_RSRC2:TRAP_HANDLER: 0
; COMPUTE_PGM_RSRC2:TGID_X_EN: 1
; COMPUTE_PGM_RSRC2:TGID_Y_EN: 1
; COMPUTE_PGM_RSRC2:TGID_Z_EN: 0
; COMPUTE_PGM_RSRC2:TIDIG_COMP_CNT: 1
; COMPUTE_PGM_RSRC3_GFX90A:ACCUM_OFFSET: 4
; COMPUTE_PGM_RSRC3_GFX90A:TG_SPLIT: 0
	.section	.text._ZN4vllm16ConcatMLAQKernelIN3c104HalfELi512EEEvPT_PKS3_S6_iillllll,"axG",@progbits,_ZN4vllm16ConcatMLAQKernelIN3c104HalfELi512EEEvPT_PKS3_S6_iillllll,comdat
	.protected	_ZN4vllm16ConcatMLAQKernelIN3c104HalfELi512EEEvPT_PKS3_S6_iillllll ; -- Begin function _ZN4vllm16ConcatMLAQKernelIN3c104HalfELi512EEEvPT_PKS3_S6_iillllll
	.globl	_ZN4vllm16ConcatMLAQKernelIN3c104HalfELi512EEEvPT_PKS3_S6_iillllll
	.p2align	8
	.type	_ZN4vllm16ConcatMLAQKernelIN3c104HalfELi512EEEvPT_PKS3_S6_iillllll,@function
_ZN4vllm16ConcatMLAQKernelIN3c104HalfELi512EEEvPT_PKS3_S6_iillllll: ; @_ZN4vllm16ConcatMLAQKernelIN3c104HalfELi512EEEvPT_PKS3_S6_iillllll
; %bb.0:
	s_load_dword s3, s[0:1], 0x5c
	s_load_dwordx2 s[16:17], s[0:1], 0x18
	s_waitcnt lgkmcnt(0)
	s_and_b32 s3, s3, 0xffff
	s_mul_i32 s2, s2, s3
	v_add_u32_e32 v1, s2, v0
	v_lshrrev_b32_e32 v1, 5, v1
	s_mul_i32 s2, s17, s16
	v_cmp_gt_i32_e32 vcc, s2, v1
	s_and_saveexec_b64 s[2:3], vcc
	s_cbranch_execz .LBB66_2
; %bb.1:
	s_abs_i32 s16, s17
	v_cvt_f32_u32_e32 v2, s16
	s_sub_i32 s21, 0, s16
	s_load_dwordx4 s[12:15], s[0:1], 0x0
	s_load_dwordx2 s[18:19], s[0:1], 0x10
	s_load_dwordx8 s[4:11], s[0:1], 0x20
	s_ashr_i32 s20, s17, 31
	v_rcp_iflag_f32_e32 v2, v2
	v_and_b32_e32 v18, 31, v0
	s_load_dwordx4 s[0:3], s[0:1], 0x40
	v_lshlrev_b32_e32 v8, 4, v18
	v_mul_f32_e32 v2, 0x4f7ffffe, v2
	v_cvt_u32_f32_e32 v2, v2
	v_mov_b32_e32 v9, 0
	v_mul_lo_u32 v3, s21, v2
	v_mul_hi_u32 v3, v2, v3
	v_add_u32_e32 v2, v2, v3
	v_mul_hi_u32 v2, v1, v2
	v_mul_lo_u32 v3, v2, s16
	v_sub_u32_e32 v3, v1, v3
	v_add_u32_e32 v4, 1, v2
	v_cmp_le_u32_e32 vcc, s16, v3
	s_nop 1
	v_cndmask_b32_e32 v2, v2, v4, vcc
	v_subrev_u32_e32 v4, s16, v3
	v_cndmask_b32_e32 v3, v3, v4, vcc
	v_add_u32_e32 v4, 1, v2
	v_cmp_le_u32_e32 vcc, s16, v3
	s_nop 1
	v_cndmask_b32_e32 v2, v2, v4, vcc
	v_xor_b32_e32 v2, s20, v2
	v_subrev_u32_e32 v14, s20, v2
	v_mul_lo_u32 v2, v14, s17
	v_ashrrev_i32_e32 v15, 31, v14
	v_sub_u32_e32 v16, v1, v2
	s_waitcnt lgkmcnt(0)
	v_mul_lo_u32 v2, v15, s8
	v_mul_lo_u32 v3, v14, s9
	v_mad_u64_u32 v[0:1], s[8:9], v14, s8, 0
	v_add3_u32 v1, v1, v3, v2
	v_mad_u64_u32 v[2:3], s[8:9], v16, s10, 0
	v_mov_b32_e32 v4, v3
	v_mad_u64_u32 v[4:5], s[8:9], v16, s11, v[4:5]
	v_lshl_add_u64 v[0:1], v[0:1], 1, s[14:15]
	v_mov_b32_e32 v3, v4
	v_lshl_add_u64 v[0:1], v[2:3], 1, v[0:1]
	v_mul_lo_u32 v4, v15, s4
	v_mul_lo_u32 v5, v14, s5
	v_mad_u64_u32 v[2:3], s[4:5], v14, s4, 0
	v_add3_u32 v3, v3, v5, v4
	v_mad_u64_u32 v[4:5], s[4:5], v16, s6, 0
	v_mov_b32_e32 v6, v5
	v_mad_u64_u32 v[6:7], s[4:5], v16, s7, v[6:7]
	v_lshl_add_u64 v[2:3], v[2:3], 1, s[12:13]
	v_mov_b32_e32 v5, v6
	v_lshl_add_u64 v[2:3], v[4:5], 1, v[2:3]
	v_lshl_add_u64 v[12:13], v[0:1], 0, v[8:9]
	;; [unrolled: 1-line block ×3, first 2 shown]
	global_load_dwordx4 v[0:3], v[12:13], off
	global_load_dwordx4 v[4:7], v[12:13], off offset:512
	v_mul_lo_u32 v8, v15, s0
	v_mul_lo_u32 v15, v14, s1
	v_mad_u64_u32 v[12:13], s[0:1], v14, s0, 0
	v_add3_u32 v13, v13, v15, v8
	v_mad_u64_u32 v[14:15], s[0:1], v16, s2, 0
	v_mov_b32_e32 v8, v15
	v_mad_u64_u32 v[16:17], s[0:1], v16, s3, v[8:9]
	v_lshl_add_u64 v[12:13], v[12:13], 1, s[18:19]
	v_mov_b32_e32 v15, v16
	v_lshl_add_u64 v[12:13], v[14:15], 1, v[12:13]
	v_lshlrev_b32_e32 v8, 2, v18
	v_lshl_add_u64 v[8:9], v[12:13], 0, v[8:9]
	global_load_dword v12, v[8:9], off
	v_mul_hi_i32_i24_e32 v9, -12, v18
	v_mul_i32_i24_e32 v8, -12, v18
	s_waitcnt vmcnt(2)
	global_store_dwordx4 v[10:11], v[0:3], off
	s_waitcnt vmcnt(2)
	global_store_dwordx4 v[10:11], v[4:7], off offset:512
	v_lshl_add_u64 v[0:1], v[10:11], 0, v[8:9]
	s_waitcnt vmcnt(2)
	global_store_dword v[0:1], v12, off offset:1024
.LBB66_2:
	s_endpgm
	.section	.rodata,"a",@progbits
	.p2align	6, 0x0
	.amdhsa_kernel _ZN4vllm16ConcatMLAQKernelIN3c104HalfELi512EEEvPT_PKS3_S6_iillllll
		.amdhsa_group_segment_fixed_size 0
		.amdhsa_private_segment_fixed_size 0
		.amdhsa_kernarg_size 336
		.amdhsa_user_sgpr_count 2
		.amdhsa_user_sgpr_dispatch_ptr 0
		.amdhsa_user_sgpr_queue_ptr 0
		.amdhsa_user_sgpr_kernarg_segment_ptr 1
		.amdhsa_user_sgpr_dispatch_id 0
		.amdhsa_user_sgpr_kernarg_preload_length 0
		.amdhsa_user_sgpr_kernarg_preload_offset 0
		.amdhsa_user_sgpr_private_segment_size 0
		.amdhsa_uses_dynamic_stack 0
		.amdhsa_enable_private_segment 0
		.amdhsa_system_sgpr_workgroup_id_x 1
		.amdhsa_system_sgpr_workgroup_id_y 0
		.amdhsa_system_sgpr_workgroup_id_z 0
		.amdhsa_system_sgpr_workgroup_info 0
		.amdhsa_system_vgpr_workitem_id 0
		.amdhsa_next_free_vgpr 19
		.amdhsa_next_free_sgpr 22
		.amdhsa_accum_offset 20
		.amdhsa_reserve_vcc 1
		.amdhsa_float_round_mode_32 0
		.amdhsa_float_round_mode_16_64 0
		.amdhsa_float_denorm_mode_32 3
		.amdhsa_float_denorm_mode_16_64 3
		.amdhsa_dx10_clamp 1
		.amdhsa_ieee_mode 1
		.amdhsa_fp16_overflow 0
		.amdhsa_tg_split 0
		.amdhsa_exception_fp_ieee_invalid_op 0
		.amdhsa_exception_fp_denorm_src 0
		.amdhsa_exception_fp_ieee_div_zero 0
		.amdhsa_exception_fp_ieee_overflow 0
		.amdhsa_exception_fp_ieee_underflow 0
		.amdhsa_exception_fp_ieee_inexact 0
		.amdhsa_exception_int_div_zero 0
	.end_amdhsa_kernel
	.section	.text._ZN4vllm16ConcatMLAQKernelIN3c104HalfELi512EEEvPT_PKS3_S6_iillllll,"axG",@progbits,_ZN4vllm16ConcatMLAQKernelIN3c104HalfELi512EEEvPT_PKS3_S6_iillllll,comdat
.Lfunc_end66:
	.size	_ZN4vllm16ConcatMLAQKernelIN3c104HalfELi512EEEvPT_PKS3_S6_iillllll, .Lfunc_end66-_ZN4vllm16ConcatMLAQKernelIN3c104HalfELi512EEEvPT_PKS3_S6_iillllll
                                        ; -- End function
	.section	.AMDGPU.csdata,"",@progbits
; Kernel info:
; codeLenInByte = 564
; NumSgprs: 28
; NumVgprs: 19
; NumAgprs: 0
; TotalNumVgprs: 19
; ScratchSize: 0
; MemoryBound: 0
; FloatMode: 240
; IeeeMode: 1
; LDSByteSize: 0 bytes/workgroup (compile time only)
; SGPRBlocks: 3
; VGPRBlocks: 2
; NumSGPRsForWavesPerEU: 28
; NumVGPRsForWavesPerEU: 19
; AccumOffset: 20
; Occupancy: 8
; WaveLimiterHint : 0
; COMPUTE_PGM_RSRC2:SCRATCH_EN: 0
; COMPUTE_PGM_RSRC2:USER_SGPR: 2
; COMPUTE_PGM_RSRC2:TRAP_HANDLER: 0
; COMPUTE_PGM_RSRC2:TGID_X_EN: 1
; COMPUTE_PGM_RSRC2:TGID_Y_EN: 0
; COMPUTE_PGM_RSRC2:TGID_Z_EN: 0
; COMPUTE_PGM_RSRC2:TIDIG_COMP_CNT: 0
; COMPUTE_PGM_RSRC3_GFX90A:ACCUM_OFFSET: 4
; COMPUTE_PGM_RSRC3_GFX90A:TG_SPLIT: 0
	.section	.text._ZN4vllm16ConcatMLAQKernelIN3c108BFloat16ELi512EEEvPT_PKS3_S6_iillllll,"axG",@progbits,_ZN4vllm16ConcatMLAQKernelIN3c108BFloat16ELi512EEEvPT_PKS3_S6_iillllll,comdat
	.protected	_ZN4vllm16ConcatMLAQKernelIN3c108BFloat16ELi512EEEvPT_PKS3_S6_iillllll ; -- Begin function _ZN4vllm16ConcatMLAQKernelIN3c108BFloat16ELi512EEEvPT_PKS3_S6_iillllll
	.globl	_ZN4vllm16ConcatMLAQKernelIN3c108BFloat16ELi512EEEvPT_PKS3_S6_iillllll
	.p2align	8
	.type	_ZN4vllm16ConcatMLAQKernelIN3c108BFloat16ELi512EEEvPT_PKS3_S6_iillllll,@function
_ZN4vllm16ConcatMLAQKernelIN3c108BFloat16ELi512EEEvPT_PKS3_S6_iillllll: ; @_ZN4vllm16ConcatMLAQKernelIN3c108BFloat16ELi512EEEvPT_PKS3_S6_iillllll
; %bb.0:
	s_load_dword s3, s[0:1], 0x5c
	s_load_dwordx2 s[16:17], s[0:1], 0x18
	s_waitcnt lgkmcnt(0)
	s_and_b32 s3, s3, 0xffff
	s_mul_i32 s2, s2, s3
	v_add_u32_e32 v1, s2, v0
	v_lshrrev_b32_e32 v1, 5, v1
	s_mul_i32 s2, s17, s16
	v_cmp_gt_i32_e32 vcc, s2, v1
	s_and_saveexec_b64 s[2:3], vcc
	s_cbranch_execz .LBB67_2
; %bb.1:
	s_abs_i32 s16, s17
	v_cvt_f32_u32_e32 v2, s16
	s_sub_i32 s21, 0, s16
	s_load_dwordx4 s[12:15], s[0:1], 0x0
	s_load_dwordx2 s[18:19], s[0:1], 0x10
	s_load_dwordx8 s[4:11], s[0:1], 0x20
	s_ashr_i32 s20, s17, 31
	v_rcp_iflag_f32_e32 v2, v2
	v_and_b32_e32 v18, 31, v0
	s_load_dwordx4 s[0:3], s[0:1], 0x40
	v_lshlrev_b32_e32 v8, 4, v18
	v_mul_f32_e32 v2, 0x4f7ffffe, v2
	v_cvt_u32_f32_e32 v2, v2
	v_mov_b32_e32 v9, 0
	v_mul_lo_u32 v3, s21, v2
	v_mul_hi_u32 v3, v2, v3
	v_add_u32_e32 v2, v2, v3
	v_mul_hi_u32 v2, v1, v2
	v_mul_lo_u32 v3, v2, s16
	v_sub_u32_e32 v3, v1, v3
	v_add_u32_e32 v4, 1, v2
	v_cmp_le_u32_e32 vcc, s16, v3
	s_nop 1
	v_cndmask_b32_e32 v2, v2, v4, vcc
	v_subrev_u32_e32 v4, s16, v3
	v_cndmask_b32_e32 v3, v3, v4, vcc
	v_add_u32_e32 v4, 1, v2
	v_cmp_le_u32_e32 vcc, s16, v3
	s_nop 1
	v_cndmask_b32_e32 v2, v2, v4, vcc
	v_xor_b32_e32 v2, s20, v2
	v_subrev_u32_e32 v14, s20, v2
	v_mul_lo_u32 v2, v14, s17
	v_ashrrev_i32_e32 v15, 31, v14
	v_sub_u32_e32 v16, v1, v2
	s_waitcnt lgkmcnt(0)
	v_mul_lo_u32 v2, v15, s8
	v_mul_lo_u32 v3, v14, s9
	v_mad_u64_u32 v[0:1], s[8:9], v14, s8, 0
	v_add3_u32 v1, v1, v3, v2
	v_mad_u64_u32 v[2:3], s[8:9], v16, s10, 0
	v_mov_b32_e32 v4, v3
	v_mad_u64_u32 v[4:5], s[8:9], v16, s11, v[4:5]
	v_lshl_add_u64 v[0:1], v[0:1], 1, s[14:15]
	v_mov_b32_e32 v3, v4
	v_lshl_add_u64 v[0:1], v[2:3], 1, v[0:1]
	v_mul_lo_u32 v4, v15, s4
	v_mul_lo_u32 v5, v14, s5
	v_mad_u64_u32 v[2:3], s[4:5], v14, s4, 0
	v_add3_u32 v3, v3, v5, v4
	v_mad_u64_u32 v[4:5], s[4:5], v16, s6, 0
	v_mov_b32_e32 v6, v5
	v_mad_u64_u32 v[6:7], s[4:5], v16, s7, v[6:7]
	v_lshl_add_u64 v[2:3], v[2:3], 1, s[12:13]
	v_mov_b32_e32 v5, v6
	v_lshl_add_u64 v[2:3], v[4:5], 1, v[2:3]
	v_lshl_add_u64 v[12:13], v[0:1], 0, v[8:9]
	;; [unrolled: 1-line block ×3, first 2 shown]
	global_load_dwordx4 v[0:3], v[12:13], off
	global_load_dwordx4 v[4:7], v[12:13], off offset:512
	v_mul_lo_u32 v8, v15, s0
	v_mul_lo_u32 v15, v14, s1
	v_mad_u64_u32 v[12:13], s[0:1], v14, s0, 0
	v_add3_u32 v13, v13, v15, v8
	v_mad_u64_u32 v[14:15], s[0:1], v16, s2, 0
	v_mov_b32_e32 v8, v15
	v_mad_u64_u32 v[16:17], s[0:1], v16, s3, v[8:9]
	v_lshl_add_u64 v[12:13], v[12:13], 1, s[18:19]
	v_mov_b32_e32 v15, v16
	v_lshl_add_u64 v[12:13], v[14:15], 1, v[12:13]
	v_lshlrev_b32_e32 v8, 2, v18
	v_lshl_add_u64 v[8:9], v[12:13], 0, v[8:9]
	global_load_dword v12, v[8:9], off
	v_mul_hi_i32_i24_e32 v9, -12, v18
	v_mul_i32_i24_e32 v8, -12, v18
	s_waitcnt vmcnt(2)
	global_store_dwordx4 v[10:11], v[0:3], off
	s_waitcnt vmcnt(2)
	global_store_dwordx4 v[10:11], v[4:7], off offset:512
	v_lshl_add_u64 v[0:1], v[10:11], 0, v[8:9]
	s_waitcnt vmcnt(2)
	global_store_dword v[0:1], v12, off offset:1024
.LBB67_2:
	s_endpgm
	.section	.rodata,"a",@progbits
	.p2align	6, 0x0
	.amdhsa_kernel _ZN4vllm16ConcatMLAQKernelIN3c108BFloat16ELi512EEEvPT_PKS3_S6_iillllll
		.amdhsa_group_segment_fixed_size 0
		.amdhsa_private_segment_fixed_size 0
		.amdhsa_kernarg_size 336
		.amdhsa_user_sgpr_count 2
		.amdhsa_user_sgpr_dispatch_ptr 0
		.amdhsa_user_sgpr_queue_ptr 0
		.amdhsa_user_sgpr_kernarg_segment_ptr 1
		.amdhsa_user_sgpr_dispatch_id 0
		.amdhsa_user_sgpr_kernarg_preload_length 0
		.amdhsa_user_sgpr_kernarg_preload_offset 0
		.amdhsa_user_sgpr_private_segment_size 0
		.amdhsa_uses_dynamic_stack 0
		.amdhsa_enable_private_segment 0
		.amdhsa_system_sgpr_workgroup_id_x 1
		.amdhsa_system_sgpr_workgroup_id_y 0
		.amdhsa_system_sgpr_workgroup_id_z 0
		.amdhsa_system_sgpr_workgroup_info 0
		.amdhsa_system_vgpr_workitem_id 0
		.amdhsa_next_free_vgpr 19
		.amdhsa_next_free_sgpr 22
		.amdhsa_accum_offset 20
		.amdhsa_reserve_vcc 1
		.amdhsa_float_round_mode_32 0
		.amdhsa_float_round_mode_16_64 0
		.amdhsa_float_denorm_mode_32 3
		.amdhsa_float_denorm_mode_16_64 3
		.amdhsa_dx10_clamp 1
		.amdhsa_ieee_mode 1
		.amdhsa_fp16_overflow 0
		.amdhsa_tg_split 0
		.amdhsa_exception_fp_ieee_invalid_op 0
		.amdhsa_exception_fp_denorm_src 0
		.amdhsa_exception_fp_ieee_div_zero 0
		.amdhsa_exception_fp_ieee_overflow 0
		.amdhsa_exception_fp_ieee_underflow 0
		.amdhsa_exception_fp_ieee_inexact 0
		.amdhsa_exception_int_div_zero 0
	.end_amdhsa_kernel
	.section	.text._ZN4vllm16ConcatMLAQKernelIN3c108BFloat16ELi512EEEvPT_PKS3_S6_iillllll,"axG",@progbits,_ZN4vllm16ConcatMLAQKernelIN3c108BFloat16ELi512EEEvPT_PKS3_S6_iillllll,comdat
.Lfunc_end67:
	.size	_ZN4vllm16ConcatMLAQKernelIN3c108BFloat16ELi512EEEvPT_PKS3_S6_iillllll, .Lfunc_end67-_ZN4vllm16ConcatMLAQKernelIN3c108BFloat16ELi512EEEvPT_PKS3_S6_iillllll
                                        ; -- End function
	.section	.AMDGPU.csdata,"",@progbits
; Kernel info:
; codeLenInByte = 564
; NumSgprs: 28
; NumVgprs: 19
; NumAgprs: 0
; TotalNumVgprs: 19
; ScratchSize: 0
; MemoryBound: 0
; FloatMode: 240
; IeeeMode: 1
; LDSByteSize: 0 bytes/workgroup (compile time only)
; SGPRBlocks: 3
; VGPRBlocks: 2
; NumSGPRsForWavesPerEU: 28
; NumVGPRsForWavesPerEU: 19
; AccumOffset: 20
; Occupancy: 8
; WaveLimiterHint : 0
; COMPUTE_PGM_RSRC2:SCRATCH_EN: 0
; COMPUTE_PGM_RSRC2:USER_SGPR: 2
; COMPUTE_PGM_RSRC2:TRAP_HANDLER: 0
; COMPUTE_PGM_RSRC2:TGID_X_EN: 1
; COMPUTE_PGM_RSRC2:TGID_Y_EN: 0
; COMPUTE_PGM_RSRC2:TGID_Z_EN: 0
; COMPUTE_PGM_RSRC2:TIDIG_COMP_CNT: 0
; COMPUTE_PGM_RSRC3_GFX90A:ACCUM_OFFSET: 4
; COMPUTE_PGM_RSRC3_GFX90A:TG_SPLIT: 0
	.text
	.p2alignl 6, 3212836864
	.fill 256, 4, 3212836864
	.type	__const.__assert_fail.fmt,@object ; @__const.__assert_fail.fmt
	.section	.rodata.str1.16,"aMS",@progbits,1
	.p2align	4, 0x0
__const.__assert_fail.fmt:
	.asciz	"%s:%u: %s: Device-side assertion `%s' failed.\n"
	.size	__const.__assert_fail.fmt, 47

	.type	.str,@object                    ; @.str
	.section	.rodata.str1.1,"aMS",@progbits,1
.str:
	.asciz	"false"
	.size	.str, 6

	.type	.str.1,@object                  ; @.str.1
.str.1:
	.asciz	"/root/src/amdgpu-assembly/repos/vllm-project__vllm/csrc/libtorch_stable/../quantization/w8a8/fp8/amd/quant_utils_hip.cuh"
	.size	.str.1, 121

	.type	__PRETTY_FUNCTION__._ZN4vllm3fp814scaled_convertIhfLNS_18Fp8KVCacheDataTypeE0EEET_RKT0_f,@object ; @__PRETTY_FUNCTION__._ZN4vllm3fp814scaled_convertIhfLNS_18Fp8KVCacheDataTypeE0EEET_RKT0_f
__PRETTY_FUNCTION__._ZN4vllm3fp814scaled_convertIhfLNS_18Fp8KVCacheDataTypeE0EEET_RKT0_f:
	.asciz	"Tout vllm::fp8::scaled_convert(const Tin &, const float) [Tout = unsigned char, Tin = float, kv_dt = vllm::Fp8KVCacheDataType::kAuto]"
	.size	__PRETTY_FUNCTION__._ZN4vllm3fp814scaled_convertIhfLNS_18Fp8KVCacheDataTypeE0EEET_RKT0_f, 134

	.type	__PRETTY_FUNCTION__._ZN4vllm3fp814scaled_convertIhtLNS_18Fp8KVCacheDataTypeE0EEET_RKT0_f,@object ; @__PRETTY_FUNCTION__._ZN4vllm3fp814scaled_convertIhtLNS_18Fp8KVCacheDataTypeE0EEET_RKT0_f
__PRETTY_FUNCTION__._ZN4vllm3fp814scaled_convertIhtLNS_18Fp8KVCacheDataTypeE0EEET_RKT0_f:
	.asciz	"Tout vllm::fp8::scaled_convert(const Tin &, const float) [Tout = unsigned char, Tin = unsigned short, kv_dt = vllm::Fp8KVCacheDataType::kAuto]"
	.size	__PRETTY_FUNCTION__._ZN4vllm3fp814scaled_convertIhtLNS_18Fp8KVCacheDataTypeE0EEET_RKT0_f, 143

	.type	__PRETTY_FUNCTION__._ZN4vllm3fp814scaled_convertIh14__hip_bfloat16LNS_18Fp8KVCacheDataTypeE0EEET_RKT0_f,@object ; @__PRETTY_FUNCTION__._ZN4vllm3fp814scaled_convertIh14__hip_bfloat16LNS_18Fp8KVCacheDataTypeE0EEET_RKT0_f
__PRETTY_FUNCTION__._ZN4vllm3fp814scaled_convertIh14__hip_bfloat16LNS_18Fp8KVCacheDataTypeE0EEET_RKT0_f:
	.asciz	"Tout vllm::fp8::scaled_convert(const Tin &, const float) [Tout = unsigned char, Tin = __hip_bfloat16, kv_dt = vllm::Fp8KVCacheDataType::kAuto]"
	.size	__PRETTY_FUNCTION__._ZN4vllm3fp814scaled_convertIh14__hip_bfloat16LNS_18Fp8KVCacheDataTypeE0EEET_RKT0_f, 143

	.type	__PRETTY_FUNCTION__._ZN4vllm3fp814scaled_convertIfhLNS_18Fp8KVCacheDataTypeE0EEET_RKT0_f,@object ; @__PRETTY_FUNCTION__._ZN4vllm3fp814scaled_convertIfhLNS_18Fp8KVCacheDataTypeE0EEET_RKT0_f
__PRETTY_FUNCTION__._ZN4vllm3fp814scaled_convertIfhLNS_18Fp8KVCacheDataTypeE0EEET_RKT0_f:
	.asciz	"Tout vllm::fp8::scaled_convert(const Tin &, const float) [Tout = float, Tin = unsigned char, kv_dt = vllm::Fp8KVCacheDataType::kAuto]"
	.size	__PRETTY_FUNCTION__._ZN4vllm3fp814scaled_convertIfhLNS_18Fp8KVCacheDataTypeE0EEET_RKT0_f, 134

	.type	__PRETTY_FUNCTION__._ZN4vllm3fp814scaled_convertIthLNS_18Fp8KVCacheDataTypeE0EEET_RKT0_f,@object ; @__PRETTY_FUNCTION__._ZN4vllm3fp814scaled_convertIthLNS_18Fp8KVCacheDataTypeE0EEET_RKT0_f
__PRETTY_FUNCTION__._ZN4vllm3fp814scaled_convertIthLNS_18Fp8KVCacheDataTypeE0EEET_RKT0_f:
	.asciz	"Tout vllm::fp8::scaled_convert(const Tin &, const float) [Tout = unsigned short, Tin = unsigned char, kv_dt = vllm::Fp8KVCacheDataType::kAuto]"
	.size	__PRETTY_FUNCTION__._ZN4vllm3fp814scaled_convertIthLNS_18Fp8KVCacheDataTypeE0EEET_RKT0_f, 143

	.type	__PRETTY_FUNCTION__._ZN4vllm3fp814scaled_convertI14__hip_bfloat16hLNS_18Fp8KVCacheDataTypeE0EEET_RKT0_f,@object ; @__PRETTY_FUNCTION__._ZN4vllm3fp814scaled_convertI14__hip_bfloat16hLNS_18Fp8KVCacheDataTypeE0EEET_RKT0_f
__PRETTY_FUNCTION__._ZN4vllm3fp814scaled_convertI14__hip_bfloat16hLNS_18Fp8KVCacheDataTypeE0EEET_RKT0_f:
	.asciz	"Tout vllm::fp8::scaled_convert(const Tin &, const float) [Tout = __hip_bfloat16, Tin = unsigned char, kv_dt = vllm::Fp8KVCacheDataType::kAuto]"
	.size	__PRETTY_FUNCTION__._ZN4vllm3fp814scaled_convertI14__hip_bfloat16hLNS_18Fp8KVCacheDataTypeE0EEET_RKT0_f, 143

	.type	.str.2,@object                  ; @.str.2
.str.2:
	.asciz	"CTA_SIZE == blockDim.x"
	.size	.str.2, 23

	.type	.str.3,@object                  ; @.str.3
.str.3:
	.asciz	"/root/src/amdgpu-assembly/repos/vllm-project__vllm/csrc/libtorch_stable/cache_kernels.hip"
	.size	.str.3, 90

	.type	__PRETTY_FUNCTION__._ZN4vllm30gather_and_maybe_dequant_cacheIffLNS_18Fp8KVCacheDataTypeE0ELi576ELi64EEEvPKT0_PT_PKiS8_S8_iillllPKfS8_,@object ; @__PRETTY_FUNCTION__._ZN4vllm30gather_and_maybe_dequant_cacheIffLNS_18Fp8KVCacheDataTypeE0ELi576ELi64EEEvPKT0_PT_PKiS8_S8_iillllPKfS8_
__PRETTY_FUNCTION__._ZN4vllm30gather_and_maybe_dequant_cacheIffLNS_18Fp8KVCacheDataTypeE0ELi576ELi64EEEvPKT0_PT_PKiS8_S8_iillllPKfS8_:
	.asciz	"void vllm::gather_and_maybe_dequant_cache(const cache_t *__restrict, scalar_t *__restrict, const int32_t *__restrict, const int32_t *__restrict, const int32_t *__restrict, const int32_t, const int32_t, const int64_t, const int64_t, const int64_t, const int64_t, const float *__restrict, const int32_t *__restrict) [scalar_t = float, cache_t = float, kv_dt = vllm::Fp8KVCacheDataType::kAuto, ENTRY_SIZE = 576, CTA_SIZE = 64]"
	.size	__PRETTY_FUNCTION__._ZN4vllm30gather_and_maybe_dequant_cacheIffLNS_18Fp8KVCacheDataTypeE0ELi576ELi64EEEvPKT0_PT_PKiS8_S8_iillllPKfS8_, 424

	.type	__PRETTY_FUNCTION__._ZN4vllm30gather_and_maybe_dequant_cacheIttLNS_18Fp8KVCacheDataTypeE0ELi576ELi64EEEvPKT0_PT_PKiS8_S8_iillllPKfS8_,@object ; @__PRETTY_FUNCTION__._ZN4vllm30gather_and_maybe_dequant_cacheIttLNS_18Fp8KVCacheDataTypeE0ELi576ELi64EEEvPKT0_PT_PKiS8_S8_iillllPKfS8_
__PRETTY_FUNCTION__._ZN4vllm30gather_and_maybe_dequant_cacheIttLNS_18Fp8KVCacheDataTypeE0ELi576ELi64EEEvPKT0_PT_PKiS8_S8_iillllPKfS8_:
	.asciz	"void vllm::gather_and_maybe_dequant_cache(const cache_t *__restrict, scalar_t *__restrict, const int32_t *__restrict, const int32_t *__restrict, const int32_t *__restrict, const int32_t, const int32_t, const int64_t, const int64_t, const int64_t, const int64_t, const float *__restrict, const int32_t *__restrict) [scalar_t = unsigned short, cache_t = unsigned short, kv_dt = vllm::Fp8KVCacheDataType::kAuto, ENTRY_SIZE = 576, CTA_SIZE = 64]"
	.size	__PRETTY_FUNCTION__._ZN4vllm30gather_and_maybe_dequant_cacheIttLNS_18Fp8KVCacheDataTypeE0ELi576ELi64EEEvPKT0_PT_PKiS8_S8_iillllPKfS8_, 442

	.type	__PRETTY_FUNCTION__._ZN4vllm30gather_and_maybe_dequant_cacheI14__hip_bfloat16S1_LNS_18Fp8KVCacheDataTypeE0ELi576ELi64EEEvPKT0_PT_PKiS9_S9_iillllPKfS9_,@object ; @__PRETTY_FUNCTION__._ZN4vllm30gather_and_maybe_dequant_cacheI14__hip_bfloat16S1_LNS_18Fp8KVCacheDataTypeE0ELi576ELi64EEEvPKT0_PT_PKiS9_S9_iillllPKfS9_
__PRETTY_FUNCTION__._ZN4vllm30gather_and_maybe_dequant_cacheI14__hip_bfloat16S1_LNS_18Fp8KVCacheDataTypeE0ELi576ELi64EEEvPKT0_PT_PKiS9_S9_iillllPKfS9_:
	.asciz	"void vllm::gather_and_maybe_dequant_cache(const cache_t *__restrict, scalar_t *__restrict, const int32_t *__restrict, const int32_t *__restrict, const int32_t *__restrict, const int32_t, const int32_t, const int64_t, const int64_t, const int64_t, const int64_t, const float *__restrict, const int32_t *__restrict) [scalar_t = __hip_bfloat16, cache_t = __hip_bfloat16, kv_dt = vllm::Fp8KVCacheDataType::kAuto, ENTRY_SIZE = 576, CTA_SIZE = 64]"
	.size	__PRETTY_FUNCTION__._ZN4vllm30gather_and_maybe_dequant_cacheI14__hip_bfloat16S1_LNS_18Fp8KVCacheDataTypeE0ELi576ELi64EEEvPKT0_PT_PKiS9_S9_iillllPKfS9_, 442

	.type	__PRETTY_FUNCTION__._ZN4vllm30gather_and_maybe_dequant_cacheIfhLNS_18Fp8KVCacheDataTypeE1ELi576ELi64EEEvPKT0_PT_PKiS8_S8_iillllPKfS8_,@object ; @__PRETTY_FUNCTION__._ZN4vllm30gather_and_maybe_dequant_cacheIfhLNS_18Fp8KVCacheDataTypeE1ELi576ELi64EEEvPKT0_PT_PKiS8_S8_iillllPKfS8_
__PRETTY_FUNCTION__._ZN4vllm30gather_and_maybe_dequant_cacheIfhLNS_18Fp8KVCacheDataTypeE1ELi576ELi64EEEvPKT0_PT_PKiS8_S8_iillllPKfS8_:
	.asciz	"void vllm::gather_and_maybe_dequant_cache(const cache_t *__restrict, scalar_t *__restrict, const int32_t *__restrict, const int32_t *__restrict, const int32_t *__restrict, const int32_t, const int32_t, const int64_t, const int64_t, const int64_t, const int64_t, const float *__restrict, const int32_t *__restrict) [scalar_t = float, cache_t = unsigned char, kv_dt = vllm::Fp8KVCacheDataType::kFp8E4M3, ENTRY_SIZE = 576, CTA_SIZE = 64]"
	.size	__PRETTY_FUNCTION__._ZN4vllm30gather_and_maybe_dequant_cacheIfhLNS_18Fp8KVCacheDataTypeE1ELi576ELi64EEEvPKT0_PT_PKiS8_S8_iillllPKfS8_, 435

	.type	__PRETTY_FUNCTION__._ZN4vllm30gather_and_maybe_dequant_cacheIthLNS_18Fp8KVCacheDataTypeE1ELi576ELi64EEEvPKT0_PT_PKiS8_S8_iillllPKfS8_,@object ; @__PRETTY_FUNCTION__._ZN4vllm30gather_and_maybe_dequant_cacheIthLNS_18Fp8KVCacheDataTypeE1ELi576ELi64EEEvPKT0_PT_PKiS8_S8_iillllPKfS8_
__PRETTY_FUNCTION__._ZN4vllm30gather_and_maybe_dequant_cacheIthLNS_18Fp8KVCacheDataTypeE1ELi576ELi64EEEvPKT0_PT_PKiS8_S8_iillllPKfS8_:
	.asciz	"void vllm::gather_and_maybe_dequant_cache(const cache_t *__restrict, scalar_t *__restrict, const int32_t *__restrict, const int32_t *__restrict, const int32_t *__restrict, const int32_t, const int32_t, const int64_t, const int64_t, const int64_t, const int64_t, const float *__restrict, const int32_t *__restrict) [scalar_t = unsigned short, cache_t = unsigned char, kv_dt = vllm::Fp8KVCacheDataType::kFp8E4M3, ENTRY_SIZE = 576, CTA_SIZE = 64]"
	.size	__PRETTY_FUNCTION__._ZN4vllm30gather_and_maybe_dequant_cacheIthLNS_18Fp8KVCacheDataTypeE1ELi576ELi64EEEvPKT0_PT_PKiS8_S8_iillllPKfS8_, 444

	.type	__PRETTY_FUNCTION__._ZN4vllm30gather_and_maybe_dequant_cacheI14__hip_bfloat16hLNS_18Fp8KVCacheDataTypeE1ELi576ELi64EEEvPKT0_PT_PKiS9_S9_iillllPKfS9_,@object ; @__PRETTY_FUNCTION__._ZN4vllm30gather_and_maybe_dequant_cacheI14__hip_bfloat16hLNS_18Fp8KVCacheDataTypeE1ELi576ELi64EEEvPKT0_PT_PKiS9_S9_iillllPKfS9_
__PRETTY_FUNCTION__._ZN4vllm30gather_and_maybe_dequant_cacheI14__hip_bfloat16hLNS_18Fp8KVCacheDataTypeE1ELi576ELi64EEEvPKT0_PT_PKiS9_S9_iillllPKfS9_:
	.asciz	"void vllm::gather_and_maybe_dequant_cache(const cache_t *__restrict, scalar_t *__restrict, const int32_t *__restrict, const int32_t *__restrict, const int32_t *__restrict, const int32_t, const int32_t, const int64_t, const int64_t, const int64_t, const int64_t, const float *__restrict, const int32_t *__restrict) [scalar_t = __hip_bfloat16, cache_t = unsigned char, kv_dt = vllm::Fp8KVCacheDataType::kFp8E4M3, ENTRY_SIZE = 576, CTA_SIZE = 64]"
	.size	__PRETTY_FUNCTION__._ZN4vllm30gather_and_maybe_dequant_cacheI14__hip_bfloat16hLNS_18Fp8KVCacheDataTypeE1ELi576ELi64EEEvPKT0_PT_PKiS9_S9_iillllPKfS9_, 444

	.type	__PRETTY_FUNCTION__._ZN4vllm30gather_and_maybe_dequant_cacheIffLNS_18Fp8KVCacheDataTypeE0ELi320ELi64EEEvPKT0_PT_PKiS8_S8_iillllPKfS8_,@object ; @__PRETTY_FUNCTION__._ZN4vllm30gather_and_maybe_dequant_cacheIffLNS_18Fp8KVCacheDataTypeE0ELi320ELi64EEEvPKT0_PT_PKiS8_S8_iillllPKfS8_
__PRETTY_FUNCTION__._ZN4vllm30gather_and_maybe_dequant_cacheIffLNS_18Fp8KVCacheDataTypeE0ELi320ELi64EEEvPKT0_PT_PKiS8_S8_iillllPKfS8_:
	.asciz	"void vllm::gather_and_maybe_dequant_cache(const cache_t *__restrict, scalar_t *__restrict, const int32_t *__restrict, const int32_t *__restrict, const int32_t *__restrict, const int32_t, const int32_t, const int64_t, const int64_t, const int64_t, const int64_t, const float *__restrict, const int32_t *__restrict) [scalar_t = float, cache_t = float, kv_dt = vllm::Fp8KVCacheDataType::kAuto, ENTRY_SIZE = 320, CTA_SIZE = 64]"
	.size	__PRETTY_FUNCTION__._ZN4vllm30gather_and_maybe_dequant_cacheIffLNS_18Fp8KVCacheDataTypeE0ELi320ELi64EEEvPKT0_PT_PKiS8_S8_iillllPKfS8_, 424

	.type	__PRETTY_FUNCTION__._ZN4vllm30gather_and_maybe_dequant_cacheIttLNS_18Fp8KVCacheDataTypeE0ELi320ELi64EEEvPKT0_PT_PKiS8_S8_iillllPKfS8_,@object ; @__PRETTY_FUNCTION__._ZN4vllm30gather_and_maybe_dequant_cacheIttLNS_18Fp8KVCacheDataTypeE0ELi320ELi64EEEvPKT0_PT_PKiS8_S8_iillllPKfS8_
__PRETTY_FUNCTION__._ZN4vllm30gather_and_maybe_dequant_cacheIttLNS_18Fp8KVCacheDataTypeE0ELi320ELi64EEEvPKT0_PT_PKiS8_S8_iillllPKfS8_:
	.asciz	"void vllm::gather_and_maybe_dequant_cache(const cache_t *__restrict, scalar_t *__restrict, const int32_t *__restrict, const int32_t *__restrict, const int32_t *__restrict, const int32_t, const int32_t, const int64_t, const int64_t, const int64_t, const int64_t, const float *__restrict, const int32_t *__restrict) [scalar_t = unsigned short, cache_t = unsigned short, kv_dt = vllm::Fp8KVCacheDataType::kAuto, ENTRY_SIZE = 320, CTA_SIZE = 64]"
	.size	__PRETTY_FUNCTION__._ZN4vllm30gather_and_maybe_dequant_cacheIttLNS_18Fp8KVCacheDataTypeE0ELi320ELi64EEEvPKT0_PT_PKiS8_S8_iillllPKfS8_, 442

	.type	__PRETTY_FUNCTION__._ZN4vllm30gather_and_maybe_dequant_cacheI14__hip_bfloat16S1_LNS_18Fp8KVCacheDataTypeE0ELi320ELi64EEEvPKT0_PT_PKiS9_S9_iillllPKfS9_,@object ; @__PRETTY_FUNCTION__._ZN4vllm30gather_and_maybe_dequant_cacheI14__hip_bfloat16S1_LNS_18Fp8KVCacheDataTypeE0ELi320ELi64EEEvPKT0_PT_PKiS9_S9_iillllPKfS9_
__PRETTY_FUNCTION__._ZN4vllm30gather_and_maybe_dequant_cacheI14__hip_bfloat16S1_LNS_18Fp8KVCacheDataTypeE0ELi320ELi64EEEvPKT0_PT_PKiS9_S9_iillllPKfS9_:
	.asciz	"void vllm::gather_and_maybe_dequant_cache(const cache_t *__restrict, scalar_t *__restrict, const int32_t *__restrict, const int32_t *__restrict, const int32_t *__restrict, const int32_t, const int32_t, const int64_t, const int64_t, const int64_t, const int64_t, const float *__restrict, const int32_t *__restrict) [scalar_t = __hip_bfloat16, cache_t = __hip_bfloat16, kv_dt = vllm::Fp8KVCacheDataType::kAuto, ENTRY_SIZE = 320, CTA_SIZE = 64]"
	.size	__PRETTY_FUNCTION__._ZN4vllm30gather_and_maybe_dequant_cacheI14__hip_bfloat16S1_LNS_18Fp8KVCacheDataTypeE0ELi320ELi64EEEvPKT0_PT_PKiS9_S9_iillllPKfS9_, 442

	.type	__PRETTY_FUNCTION__._ZN4vllm30gather_and_maybe_dequant_cacheIfhLNS_18Fp8KVCacheDataTypeE1ELi320ELi64EEEvPKT0_PT_PKiS8_S8_iillllPKfS8_,@object ; @__PRETTY_FUNCTION__._ZN4vllm30gather_and_maybe_dequant_cacheIfhLNS_18Fp8KVCacheDataTypeE1ELi320ELi64EEEvPKT0_PT_PKiS8_S8_iillllPKfS8_
__PRETTY_FUNCTION__._ZN4vllm30gather_and_maybe_dequant_cacheIfhLNS_18Fp8KVCacheDataTypeE1ELi320ELi64EEEvPKT0_PT_PKiS8_S8_iillllPKfS8_:
	.asciz	"void vllm::gather_and_maybe_dequant_cache(const cache_t *__restrict, scalar_t *__restrict, const int32_t *__restrict, const int32_t *__restrict, const int32_t *__restrict, const int32_t, const int32_t, const int64_t, const int64_t, const int64_t, const int64_t, const float *__restrict, const int32_t *__restrict) [scalar_t = float, cache_t = unsigned char, kv_dt = vllm::Fp8KVCacheDataType::kFp8E4M3, ENTRY_SIZE = 320, CTA_SIZE = 64]"
	.size	__PRETTY_FUNCTION__._ZN4vllm30gather_and_maybe_dequant_cacheIfhLNS_18Fp8KVCacheDataTypeE1ELi320ELi64EEEvPKT0_PT_PKiS8_S8_iillllPKfS8_, 435

	.type	__PRETTY_FUNCTION__._ZN4vllm30gather_and_maybe_dequant_cacheIthLNS_18Fp8KVCacheDataTypeE1ELi320ELi64EEEvPKT0_PT_PKiS8_S8_iillllPKfS8_,@object ; @__PRETTY_FUNCTION__._ZN4vllm30gather_and_maybe_dequant_cacheIthLNS_18Fp8KVCacheDataTypeE1ELi320ELi64EEEvPKT0_PT_PKiS8_S8_iillllPKfS8_
__PRETTY_FUNCTION__._ZN4vllm30gather_and_maybe_dequant_cacheIthLNS_18Fp8KVCacheDataTypeE1ELi320ELi64EEEvPKT0_PT_PKiS8_S8_iillllPKfS8_:
	.asciz	"void vllm::gather_and_maybe_dequant_cache(const cache_t *__restrict, scalar_t *__restrict, const int32_t *__restrict, const int32_t *__restrict, const int32_t *__restrict, const int32_t, const int32_t, const int64_t, const int64_t, const int64_t, const int64_t, const float *__restrict, const int32_t *__restrict) [scalar_t = unsigned short, cache_t = unsigned char, kv_dt = vllm::Fp8KVCacheDataType::kFp8E4M3, ENTRY_SIZE = 320, CTA_SIZE = 64]"
	.size	__PRETTY_FUNCTION__._ZN4vllm30gather_and_maybe_dequant_cacheIthLNS_18Fp8KVCacheDataTypeE1ELi320ELi64EEEvPKT0_PT_PKiS8_S8_iillllPKfS8_, 444

	.type	__PRETTY_FUNCTION__._ZN4vllm30gather_and_maybe_dequant_cacheI14__hip_bfloat16hLNS_18Fp8KVCacheDataTypeE1ELi320ELi64EEEvPKT0_PT_PKiS9_S9_iillllPKfS9_,@object ; @__PRETTY_FUNCTION__._ZN4vllm30gather_and_maybe_dequant_cacheI14__hip_bfloat16hLNS_18Fp8KVCacheDataTypeE1ELi320ELi64EEEvPKT0_PT_PKiS9_S9_iillllPKfS9_
__PRETTY_FUNCTION__._ZN4vllm30gather_and_maybe_dequant_cacheI14__hip_bfloat16hLNS_18Fp8KVCacheDataTypeE1ELi320ELi64EEEvPKT0_PT_PKiS9_S9_iillllPKfS9_:
	.asciz	"void vllm::gather_and_maybe_dequant_cache(const cache_t *__restrict, scalar_t *__restrict, const int32_t *__restrict, const int32_t *__restrict, const int32_t *__restrict, const int32_t, const int32_t, const int64_t, const int64_t, const int64_t, const int64_t, const float *__restrict, const int32_t *__restrict) [scalar_t = __hip_bfloat16, cache_t = unsigned char, kv_dt = vllm::Fp8KVCacheDataType::kFp8E4M3, ENTRY_SIZE = 320, CTA_SIZE = 64]"
	.size	__PRETTY_FUNCTION__._ZN4vllm30gather_and_maybe_dequant_cacheI14__hip_bfloat16hLNS_18Fp8KVCacheDataTypeE1ELi320ELi64EEEvPKT0_PT_PKiS9_S9_iillllPKfS9_, 444

	.type	__PRETTY_FUNCTION__._ZN4vllm3fp814scaled_convertIffLNS_18Fp8KVCacheDataTypeE0EEET_RKT0_f,@object ; @__PRETTY_FUNCTION__._ZN4vllm3fp814scaled_convertIffLNS_18Fp8KVCacheDataTypeE0EEET_RKT0_f
__PRETTY_FUNCTION__._ZN4vllm3fp814scaled_convertIffLNS_18Fp8KVCacheDataTypeE0EEET_RKT0_f:
	.asciz	"Tout vllm::fp8::scaled_convert(const Tin &, const float) [Tout = float, Tin = float, kv_dt = vllm::Fp8KVCacheDataType::kAuto]"
	.size	__PRETTY_FUNCTION__._ZN4vllm3fp814scaled_convertIffLNS_18Fp8KVCacheDataTypeE0EEET_RKT0_f, 126

	.type	__PRETTY_FUNCTION__._ZN4vllm3fp814scaled_convertIttLNS_18Fp8KVCacheDataTypeE0EEET_RKT0_f,@object ; @__PRETTY_FUNCTION__._ZN4vllm3fp814scaled_convertIttLNS_18Fp8KVCacheDataTypeE0EEET_RKT0_f
__PRETTY_FUNCTION__._ZN4vllm3fp814scaled_convertIttLNS_18Fp8KVCacheDataTypeE0EEET_RKT0_f:
	.asciz	"Tout vllm::fp8::scaled_convert(const Tin &, const float) [Tout = unsigned short, Tin = unsigned short, kv_dt = vllm::Fp8KVCacheDataType::kAuto]"
	.size	__PRETTY_FUNCTION__._ZN4vllm3fp814scaled_convertIttLNS_18Fp8KVCacheDataTypeE0EEET_RKT0_f, 144

	.type	__PRETTY_FUNCTION__._ZN4vllm3fp814scaled_convertI14__hip_bfloat16S2_LNS_18Fp8KVCacheDataTypeE0EEET_RKT0_f,@object ; @__PRETTY_FUNCTION__._ZN4vllm3fp814scaled_convertI14__hip_bfloat16S2_LNS_18Fp8KVCacheDataTypeE0EEET_RKT0_f
__PRETTY_FUNCTION__._ZN4vllm3fp814scaled_convertI14__hip_bfloat16S2_LNS_18Fp8KVCacheDataTypeE0EEET_RKT0_f:
	.asciz	"Tout vllm::fp8::scaled_convert(const Tin &, const float) [Tout = __hip_bfloat16, Tin = __hip_bfloat16, kv_dt = vllm::Fp8KVCacheDataType::kAuto]"
	.size	__PRETTY_FUNCTION__._ZN4vllm3fp814scaled_convertI14__hip_bfloat16S2_LNS_18Fp8KVCacheDataTypeE0EEET_RKT0_f, 144

	.type	__hip_cuid_f7f775c734dc737b,@object ; @__hip_cuid_f7f775c734dc737b
	.section	.bss,"aw",@nobits
	.globl	__hip_cuid_f7f775c734dc737b
__hip_cuid_f7f775c734dc737b:
	.byte	0                               ; 0x0
	.size	__hip_cuid_f7f775c734dc737b, 1

	.ident	"AMD clang version 19.0.0git (https://github.com/RadeonOpenCompute/llvm-project roc-6.4.0 25133 c7fe45cf4b819c5991fe208aaa96edf142730f1d)"
	.section	".note.GNU-stack","",@progbits
	.addrsig
	.addrsig_sym __hip_cuid_f7f775c734dc737b
	.amdgpu_metadata
---
amdhsa.kernels:
  - .agpr_count:     0
    .args:
      - .actual_access:  read_only
        .address_space:  global
        .offset:         0
        .size:           8
        .value_kind:     global_buffer
      - .actual_access:  write_only
        .address_space:  global
        .offset:         8
        .size:           8
        .value_kind:     global_buffer
      - .actual_access:  read_only
        .address_space:  global
        .offset:         16
        .size:           8
        .value_kind:     global_buffer
      - .actual_access:  read_only
        .address_space:  global
        .offset:         24
        .size:           8
        .value_kind:     global_buffer
      - .offset:         32
        .size:           4
        .value_kind:     by_value
      - .offset:         36
        .size:           4
        .value_kind:     by_value
      - .offset:         40
        .size:           4
        .value_kind:     by_value
      - .offset:         48
        .size:           8
        .value_kind:     by_value
      - .offset:         56
        .size:           8
        .value_kind:     by_value
      - .offset:         64
        .size:           8
        .value_kind:     by_value
      - .offset:         72
        .size:           8
        .value_kind:     by_value
      - .offset:         80
        .size:           4
        .value_kind:     hidden_block_count_x
      - .offset:         84
        .size:           4
        .value_kind:     hidden_block_count_y
      - .offset:         88
        .size:           4
        .value_kind:     hidden_block_count_z
      - .offset:         92
        .size:           2
        .value_kind:     hidden_group_size_x
      - .offset:         94
        .size:           2
        .value_kind:     hidden_group_size_y
      - .offset:         96
        .size:           2
        .value_kind:     hidden_group_size_z
      - .offset:         98
        .size:           2
        .value_kind:     hidden_remainder_x
      - .offset:         100
        .size:           2
        .value_kind:     hidden_remainder_y
      - .offset:         102
        .size:           2
        .value_kind:     hidden_remainder_z
      - .offset:         120
        .size:           8
        .value_kind:     hidden_global_offset_x
      - .offset:         128
        .size:           8
        .value_kind:     hidden_global_offset_y
      - .offset:         136
        .size:           8
        .value_kind:     hidden_global_offset_z
      - .offset:         144
        .size:           2
        .value_kind:     hidden_grid_dims
    .group_segment_fixed_size: 0
    .kernarg_segment_align: 8
    .kernarg_segment_size: 336
    .language:       OpenCL C
    .language_version:
      - 2
      - 0
    .max_flat_workgroup_size: 1024
    .name:           _ZN4vllm36cp_gather_and_upconvert_fp8_kv_cacheEPKhP14__hip_bfloat16PKiS5_iiillll
    .private_segment_fixed_size: 0
    .sgpr_count:     30
    .sgpr_spill_count: 0
    .symbol:         _ZN4vllm36cp_gather_and_upconvert_fp8_kv_cacheEPKhP14__hip_bfloat16PKiS5_iiillll.kd
    .uniform_work_group_size: 1
    .uses_dynamic_stack: false
    .vgpr_count:     30
    .vgpr_spill_count: 0
    .wavefront_size: 64
  - .agpr_count:     0
    .args:
      - .address_space:  global
        .offset:         0
        .size:           8
        .value_kind:     global_buffer
      - .actual_access:  read_only
        .address_space:  global
        .offset:         8
        .size:           8
        .value_kind:     global_buffer
      - .actual_access:  write_only
        .address_space:  global
        .offset:         16
        .size:           8
        .value_kind:     global_buffer
      - .actual_access:  write_only
        .address_space:  global
        .offset:         24
        .size:           8
        .value_kind:     global_buffer
      - .actual_access:  read_only
        .address_space:  global
        .offset:         32
        .size:           8
        .value_kind:     global_buffer
      - .offset:         40
        .size:           4
        .value_kind:     by_value
      - .offset:         44
        .size:           4
        .value_kind:     by_value
      - .offset:         48
        .size:           4
        .value_kind:     by_value
      - .offset:         52
        .size:           4
        .value_kind:     by_value
      - .offset:         56
        .size:           4
        .value_kind:     by_value
      - .offset:         60
        .size:           4
        .value_kind:     by_value
      - .address_space:  global
        .offset:         64
        .size:           8
        .value_kind:     global_buffer
      - .address_space:  global
        .offset:         72
        .size:           8
        .value_kind:     global_buffer
    .group_segment_fixed_size: 0
    .kernarg_segment_align: 8
    .kernarg_segment_size: 80
    .language:       OpenCL C
    .language_version:
      - 2
      - 0
    .max_flat_workgroup_size: 1024
    .name:           _ZN4vllm24reshape_and_cache_kernelIffLNS_18Fp8KVCacheDataTypeE0EEEvPKT_S4_PT0_S6_PKliiiiiiPKfSA_
    .private_segment_fixed_size: 0
    .sgpr_count:     50
    .sgpr_spill_count: 0
    .symbol:         _ZN4vllm24reshape_and_cache_kernelIffLNS_18Fp8KVCacheDataTypeE0EEEvPKT_S4_PT0_S6_PKliiiiiiPKfSA_.kd
    .uniform_work_group_size: 1
    .uses_dynamic_stack: false
    .vgpr_count:     42
    .vgpr_spill_count: 0
    .wavefront_size: 64
  - .agpr_count:     0
    .args:
      - .address_space:  global
        .offset:         0
        .size:           8
        .value_kind:     global_buffer
      - .actual_access:  read_only
        .address_space:  global
        .offset:         8
        .size:           8
        .value_kind:     global_buffer
      - .actual_access:  write_only
        .address_space:  global
        .offset:         16
        .size:           8
        .value_kind:     global_buffer
      - .actual_access:  write_only
        .address_space:  global
        .offset:         24
        .size:           8
        .value_kind:     global_buffer
      - .actual_access:  read_only
        .address_space:  global
        .offset:         32
        .size:           8
        .value_kind:     global_buffer
      - .offset:         40
        .size:           4
        .value_kind:     by_value
      - .offset:         44
        .size:           4
        .value_kind:     by_value
      - .offset:         48
        .size:           4
        .value_kind:     by_value
      - .offset:         52
        .size:           4
        .value_kind:     by_value
      - .offset:         56
        .size:           4
        .value_kind:     by_value
      - .offset:         60
        .size:           4
        .value_kind:     by_value
      - .address_space:  global
        .offset:         64
        .size:           8
        .value_kind:     global_buffer
      - .address_space:  global
        .offset:         72
        .size:           8
        .value_kind:     global_buffer
    .group_segment_fixed_size: 0
    .kernarg_segment_align: 8
    .kernarg_segment_size: 80
    .language:       OpenCL C
    .language_version:
      - 2
      - 0
    .max_flat_workgroup_size: 1024
    .name:           _ZN4vllm24reshape_and_cache_kernelIttLNS_18Fp8KVCacheDataTypeE0EEEvPKT_S4_PT0_S6_PKliiiiiiPKfSA_
    .private_segment_fixed_size: 0
    .sgpr_count:     45
    .sgpr_spill_count: 0
    .symbol:         _ZN4vllm24reshape_and_cache_kernelIttLNS_18Fp8KVCacheDataTypeE0EEEvPKT_S4_PT0_S6_PKliiiiiiPKfSA_.kd
    .uniform_work_group_size: 1
    .uses_dynamic_stack: false
    .vgpr_count:     42
    .vgpr_spill_count: 0
    .wavefront_size: 64
  - .agpr_count:     0
    .args:
      - .address_space:  global
        .offset:         0
        .size:           8
        .value_kind:     global_buffer
      - .actual_access:  read_only
        .address_space:  global
        .offset:         8
        .size:           8
        .value_kind:     global_buffer
      - .actual_access:  write_only
        .address_space:  global
        .offset:         16
        .size:           8
        .value_kind:     global_buffer
      - .actual_access:  write_only
        .address_space:  global
        .offset:         24
        .size:           8
        .value_kind:     global_buffer
      - .actual_access:  read_only
        .address_space:  global
        .offset:         32
        .size:           8
        .value_kind:     global_buffer
      - .offset:         40
        .size:           4
        .value_kind:     by_value
      - .offset:         44
        .size:           4
        .value_kind:     by_value
      - .offset:         48
        .size:           4
        .value_kind:     by_value
      - .offset:         52
        .size:           4
        .value_kind:     by_value
      - .offset:         56
        .size:           4
        .value_kind:     by_value
      - .offset:         60
        .size:           4
        .value_kind:     by_value
      - .address_space:  global
        .offset:         64
        .size:           8
        .value_kind:     global_buffer
      - .address_space:  global
        .offset:         72
        .size:           8
        .value_kind:     global_buffer
    .group_segment_fixed_size: 0
    .kernarg_segment_align: 8
    .kernarg_segment_size: 80
    .language:       OpenCL C
    .language_version:
      - 2
      - 0
    .max_flat_workgroup_size: 1024
    .name:           _ZN4vllm24reshape_and_cache_kernelI14__hip_bfloat16S1_LNS_18Fp8KVCacheDataTypeE0EEEvPKT_S5_PT0_S7_PKliiiiiiPKfSB_
    .private_segment_fixed_size: 0
    .sgpr_count:     45
    .sgpr_spill_count: 0
    .symbol:         _ZN4vllm24reshape_and_cache_kernelI14__hip_bfloat16S1_LNS_18Fp8KVCacheDataTypeE0EEEvPKT_S5_PT0_S7_PKliiiiiiPKfSB_.kd
    .uniform_work_group_size: 1
    .uses_dynamic_stack: false
    .vgpr_count:     42
    .vgpr_spill_count: 0
    .wavefront_size: 64
  - .agpr_count:     0
    .args:
      - .address_space:  global
        .offset:         0
        .size:           8
        .value_kind:     global_buffer
      - .actual_access:  read_only
        .address_space:  global
        .offset:         8
        .size:           8
        .value_kind:     global_buffer
      - .actual_access:  write_only
        .address_space:  global
        .offset:         16
        .size:           8
        .value_kind:     global_buffer
      - .actual_access:  write_only
        .address_space:  global
        .offset:         24
        .size:           8
        .value_kind:     global_buffer
      - .actual_access:  read_only
        .address_space:  global
        .offset:         32
        .size:           8
        .value_kind:     global_buffer
      - .offset:         40
        .size:           4
        .value_kind:     by_value
      - .offset:         44
        .size:           4
        .value_kind:     by_value
      - .offset:         48
        .size:           4
        .value_kind:     by_value
      - .offset:         52
        .size:           4
        .value_kind:     by_value
      - .offset:         56
        .size:           4
        .value_kind:     by_value
      - .offset:         60
        .size:           4
        .value_kind:     by_value
      - .address_space:  global
        .offset:         64
        .size:           8
        .value_kind:     global_buffer
      - .address_space:  global
        .offset:         72
        .size:           8
        .value_kind:     global_buffer
    .group_segment_fixed_size: 0
    .kernarg_segment_align: 8
    .kernarg_segment_size: 80
    .language:       OpenCL C
    .language_version:
      - 2
      - 0
    .max_flat_workgroup_size: 1024
    .name:           _ZN4vllm24reshape_and_cache_kernelIfhLNS_18Fp8KVCacheDataTypeE1EEEvPKT_S4_PT0_S6_PKliiiiiiPKfSA_
    .private_segment_fixed_size: 0
    .sgpr_count:     49
    .sgpr_spill_count: 0
    .symbol:         _ZN4vllm24reshape_and_cache_kernelIfhLNS_18Fp8KVCacheDataTypeE1EEEvPKT_S4_PT0_S6_PKliiiiiiPKfSA_.kd
    .uniform_work_group_size: 1
    .uses_dynamic_stack: false
    .vgpr_count:     46
    .vgpr_spill_count: 0
    .wavefront_size: 64
  - .agpr_count:     0
    .args:
      - .address_space:  global
        .offset:         0
        .size:           8
        .value_kind:     global_buffer
      - .actual_access:  read_only
        .address_space:  global
        .offset:         8
        .size:           8
        .value_kind:     global_buffer
      - .actual_access:  write_only
        .address_space:  global
        .offset:         16
        .size:           8
        .value_kind:     global_buffer
      - .actual_access:  write_only
        .address_space:  global
        .offset:         24
        .size:           8
        .value_kind:     global_buffer
      - .actual_access:  read_only
        .address_space:  global
        .offset:         32
        .size:           8
        .value_kind:     global_buffer
      - .offset:         40
        .size:           4
        .value_kind:     by_value
      - .offset:         44
        .size:           4
        .value_kind:     by_value
      - .offset:         48
        .size:           4
        .value_kind:     by_value
      - .offset:         52
        .size:           4
        .value_kind:     by_value
      - .offset:         56
        .size:           4
        .value_kind:     by_value
      - .offset:         60
        .size:           4
        .value_kind:     by_value
      - .address_space:  global
        .offset:         64
        .size:           8
        .value_kind:     global_buffer
      - .address_space:  global
        .offset:         72
        .size:           8
        .value_kind:     global_buffer
    .group_segment_fixed_size: 0
    .kernarg_segment_align: 8
    .kernarg_segment_size: 80
    .language:       OpenCL C
    .language_version:
      - 2
      - 0
    .max_flat_workgroup_size: 1024
    .name:           _ZN4vllm24reshape_and_cache_kernelIthLNS_18Fp8KVCacheDataTypeE1EEEvPKT_S4_PT0_S6_PKliiiiiiPKfSA_
    .private_segment_fixed_size: 0
    .sgpr_count:     42
    .sgpr_spill_count: 0
    .symbol:         _ZN4vllm24reshape_and_cache_kernelIthLNS_18Fp8KVCacheDataTypeE1EEEvPKT_S4_PT0_S6_PKliiiiiiPKfSA_.kd
    .uniform_work_group_size: 1
    .uses_dynamic_stack: false
    .vgpr_count:     45
    .vgpr_spill_count: 0
    .wavefront_size: 64
  - .agpr_count:     0
    .args:
      - .address_space:  global
        .offset:         0
        .size:           8
        .value_kind:     global_buffer
      - .actual_access:  read_only
        .address_space:  global
        .offset:         8
        .size:           8
        .value_kind:     global_buffer
      - .actual_access:  write_only
        .address_space:  global
        .offset:         16
        .size:           8
        .value_kind:     global_buffer
      - .actual_access:  write_only
        .address_space:  global
        .offset:         24
        .size:           8
        .value_kind:     global_buffer
      - .actual_access:  read_only
        .address_space:  global
        .offset:         32
        .size:           8
        .value_kind:     global_buffer
      - .offset:         40
        .size:           4
        .value_kind:     by_value
      - .offset:         44
        .size:           4
        .value_kind:     by_value
      - .offset:         48
        .size:           4
        .value_kind:     by_value
      - .offset:         52
        .size:           4
        .value_kind:     by_value
      - .offset:         56
        .size:           4
        .value_kind:     by_value
      - .offset:         60
        .size:           4
        .value_kind:     by_value
      - .address_space:  global
        .offset:         64
        .size:           8
        .value_kind:     global_buffer
      - .address_space:  global
        .offset:         72
        .size:           8
        .value_kind:     global_buffer
    .group_segment_fixed_size: 0
    .kernarg_segment_align: 8
    .kernarg_segment_size: 80
    .language:       OpenCL C
    .language_version:
      - 2
      - 0
    .max_flat_workgroup_size: 1024
    .name:           _ZN4vllm24reshape_and_cache_kernelI14__hip_bfloat16hLNS_18Fp8KVCacheDataTypeE1EEEvPKT_S5_PT0_S7_PKliiiiiiPKfSB_
    .private_segment_fixed_size: 0
    .sgpr_count:     42
    .sgpr_spill_count: 0
    .symbol:         _ZN4vllm24reshape_and_cache_kernelI14__hip_bfloat16hLNS_18Fp8KVCacheDataTypeE1EEEvPKT_S5_PT0_S7_PKliiiiiiPKfSB_.kd
    .uniform_work_group_size: 1
    .uses_dynamic_stack: false
    .vgpr_count:     45
    .vgpr_spill_count: 0
    .wavefront_size: 64
  - .agpr_count:     0
    .args:
      - .address_space:  global
        .offset:         0
        .size:           8
        .value_kind:     global_buffer
      - .address_space:  global
        .offset:         8
        .size:           8
        .value_kind:     global_buffer
      - .actual_access:  write_only
        .address_space:  global
        .offset:         16
        .size:           8
        .value_kind:     global_buffer
      - .actual_access:  write_only
        .address_space:  global
        .offset:         24
        .size:           8
        .value_kind:     global_buffer
      - .actual_access:  read_only
        .address_space:  global
        .offset:         32
        .size:           8
        .value_kind:     global_buffer
      - .offset:         40
        .size:           8
        .value_kind:     by_value
      - .offset:         48
        .size:           8
        .value_kind:     by_value
      - .offset:         56
        .size:           8
        .value_kind:     by_value
      - .offset:         64
        .size:           8
        .value_kind:     by_value
      - .offset:         72
        .size:           8
        .value_kind:     by_value
      - .offset:         80
        .size:           4
        .value_kind:     by_value
      - .offset:         84
        .size:           4
        .value_kind:     by_value
      - .offset:         88
        .size:           4
        .value_kind:     by_value
      - .address_space:  global
        .offset:         96
        .size:           8
        .value_kind:     global_buffer
      - .address_space:  global
        .offset:         104
        .size:           8
        .value_kind:     global_buffer
      - .offset:         112
        .size:           4
        .value_kind:     by_value
      - .offset:         120
        .size:           4
        .value_kind:     hidden_block_count_x
      - .offset:         124
        .size:           4
        .value_kind:     hidden_block_count_y
      - .offset:         128
        .size:           4
        .value_kind:     hidden_block_count_z
      - .offset:         132
        .size:           2
        .value_kind:     hidden_group_size_x
      - .offset:         134
        .size:           2
        .value_kind:     hidden_group_size_y
      - .offset:         136
        .size:           2
        .value_kind:     hidden_group_size_z
      - .offset:         138
        .size:           2
        .value_kind:     hidden_remainder_x
      - .offset:         140
        .size:           2
        .value_kind:     hidden_remainder_y
      - .offset:         142
        .size:           2
        .value_kind:     hidden_remainder_z
      - .offset:         160
        .size:           8
        .value_kind:     hidden_global_offset_x
      - .offset:         168
        .size:           8
        .value_kind:     hidden_global_offset_y
      - .offset:         176
        .size:           8
        .value_kind:     hidden_global_offset_z
      - .offset:         184
        .size:           2
        .value_kind:     hidden_grid_dims
    .group_segment_fixed_size: 0
    .kernarg_segment_align: 8
    .kernarg_segment_size: 376
    .language:       OpenCL C
    .language_version:
      - 2
      - 0
    .max_flat_workgroup_size: 1024
    .name:           _ZN4vllm30reshape_and_cache_flash_kernelIffLNS_18Fp8KVCacheDataTypeE0EEEvPKT_S4_PT0_S6_PKlllllliiiPKfSA_i
    .private_segment_fixed_size: 0
    .sgpr_count:     60
    .sgpr_spill_count: 0
    .symbol:         _ZN4vllm30reshape_and_cache_flash_kernelIffLNS_18Fp8KVCacheDataTypeE0EEEvPKT_S4_PT0_S6_PKlllllliiiPKfSA_i.kd
    .uniform_work_group_size: 1
    .uses_dynamic_stack: false
    .vgpr_count:     54
    .vgpr_spill_count: 0
    .wavefront_size: 64
  - .agpr_count:     0
    .args:
      - .address_space:  global
        .offset:         0
        .size:           8
        .value_kind:     global_buffer
      - .address_space:  global
        .offset:         8
        .size:           8
        .value_kind:     global_buffer
      - .actual_access:  write_only
        .address_space:  global
        .offset:         16
        .size:           8
        .value_kind:     global_buffer
      - .actual_access:  write_only
        .address_space:  global
        .offset:         24
        .size:           8
        .value_kind:     global_buffer
      - .actual_access:  read_only
        .address_space:  global
        .offset:         32
        .size:           8
        .value_kind:     global_buffer
      - .offset:         40
        .size:           8
        .value_kind:     by_value
      - .offset:         48
        .size:           8
        .value_kind:     by_value
      - .offset:         56
        .size:           8
        .value_kind:     by_value
      - .offset:         64
        .size:           8
        .value_kind:     by_value
      - .offset:         72
        .size:           8
        .value_kind:     by_value
      - .offset:         80
        .size:           4
        .value_kind:     by_value
      - .offset:         84
        .size:           4
        .value_kind:     by_value
      - .offset:         88
        .size:           4
        .value_kind:     by_value
      - .address_space:  global
        .offset:         96
        .size:           8
        .value_kind:     global_buffer
      - .address_space:  global
        .offset:         104
        .size:           8
        .value_kind:     global_buffer
      - .offset:         112
        .size:           4
        .value_kind:     by_value
      - .offset:         120
        .size:           4
        .value_kind:     hidden_block_count_x
      - .offset:         124
        .size:           4
        .value_kind:     hidden_block_count_y
      - .offset:         128
        .size:           4
        .value_kind:     hidden_block_count_z
      - .offset:         132
        .size:           2
        .value_kind:     hidden_group_size_x
      - .offset:         134
        .size:           2
        .value_kind:     hidden_group_size_y
      - .offset:         136
        .size:           2
        .value_kind:     hidden_group_size_z
      - .offset:         138
        .size:           2
        .value_kind:     hidden_remainder_x
      - .offset:         140
        .size:           2
        .value_kind:     hidden_remainder_y
      - .offset:         142
        .size:           2
        .value_kind:     hidden_remainder_z
      - .offset:         160
        .size:           8
        .value_kind:     hidden_global_offset_x
      - .offset:         168
        .size:           8
        .value_kind:     hidden_global_offset_y
      - .offset:         176
        .size:           8
        .value_kind:     hidden_global_offset_z
      - .offset:         184
        .size:           2
        .value_kind:     hidden_grid_dims
    .group_segment_fixed_size: 0
    .kernarg_segment_align: 8
    .kernarg_segment_size: 376
    .language:       OpenCL C
    .language_version:
      - 2
      - 0
    .max_flat_workgroup_size: 1024
    .name:           _ZN4vllm30reshape_and_cache_flash_kernelIttLNS_18Fp8KVCacheDataTypeE0EEEvPKT_S4_PT0_S6_PKlllllliiiPKfSA_i
    .private_segment_fixed_size: 0
    .sgpr_count:     48
    .sgpr_spill_count: 0
    .symbol:         _ZN4vllm30reshape_and_cache_flash_kernelIttLNS_18Fp8KVCacheDataTypeE0EEEvPKT_S4_PT0_S6_PKlllllliiiPKfSA_i.kd
    .uniform_work_group_size: 1
    .uses_dynamic_stack: false
    .vgpr_count:     61
    .vgpr_spill_count: 0
    .wavefront_size: 64
  - .agpr_count:     0
    .args:
      - .address_space:  global
        .offset:         0
        .size:           8
        .value_kind:     global_buffer
      - .address_space:  global
        .offset:         8
        .size:           8
        .value_kind:     global_buffer
      - .actual_access:  write_only
        .address_space:  global
        .offset:         16
        .size:           8
        .value_kind:     global_buffer
      - .actual_access:  write_only
        .address_space:  global
        .offset:         24
        .size:           8
        .value_kind:     global_buffer
      - .actual_access:  read_only
        .address_space:  global
        .offset:         32
        .size:           8
        .value_kind:     global_buffer
      - .offset:         40
        .size:           8
        .value_kind:     by_value
      - .offset:         48
        .size:           8
        .value_kind:     by_value
      - .offset:         56
        .size:           8
        .value_kind:     by_value
      - .offset:         64
        .size:           8
        .value_kind:     by_value
      - .offset:         72
        .size:           8
        .value_kind:     by_value
      - .offset:         80
        .size:           4
        .value_kind:     by_value
      - .offset:         84
        .size:           4
        .value_kind:     by_value
      - .offset:         88
        .size:           4
        .value_kind:     by_value
      - .address_space:  global
        .offset:         96
        .size:           8
        .value_kind:     global_buffer
      - .address_space:  global
        .offset:         104
        .size:           8
        .value_kind:     global_buffer
      - .offset:         112
        .size:           4
        .value_kind:     by_value
      - .offset:         120
        .size:           4
        .value_kind:     hidden_block_count_x
      - .offset:         124
        .size:           4
        .value_kind:     hidden_block_count_y
      - .offset:         128
        .size:           4
        .value_kind:     hidden_block_count_z
      - .offset:         132
        .size:           2
        .value_kind:     hidden_group_size_x
      - .offset:         134
        .size:           2
        .value_kind:     hidden_group_size_y
      - .offset:         136
        .size:           2
        .value_kind:     hidden_group_size_z
      - .offset:         138
        .size:           2
        .value_kind:     hidden_remainder_x
      - .offset:         140
        .size:           2
        .value_kind:     hidden_remainder_y
      - .offset:         142
        .size:           2
        .value_kind:     hidden_remainder_z
      - .offset:         160
        .size:           8
        .value_kind:     hidden_global_offset_x
      - .offset:         168
        .size:           8
        .value_kind:     hidden_global_offset_y
      - .offset:         176
        .size:           8
        .value_kind:     hidden_global_offset_z
      - .offset:         184
        .size:           2
        .value_kind:     hidden_grid_dims
    .group_segment_fixed_size: 0
    .kernarg_segment_align: 8
    .kernarg_segment_size: 376
    .language:       OpenCL C
    .language_version:
      - 2
      - 0
    .max_flat_workgroup_size: 1024
    .name:           _ZN4vllm30reshape_and_cache_flash_kernelI14__hip_bfloat16S1_LNS_18Fp8KVCacheDataTypeE0EEEvPKT_S5_PT0_S7_PKlllllliiiPKfSB_i
    .private_segment_fixed_size: 0
    .sgpr_count:     48
    .sgpr_spill_count: 0
    .symbol:         _ZN4vllm30reshape_and_cache_flash_kernelI14__hip_bfloat16S1_LNS_18Fp8KVCacheDataTypeE0EEEvPKT_S5_PT0_S7_PKlllllliiiPKfSB_i.kd
    .uniform_work_group_size: 1
    .uses_dynamic_stack: false
    .vgpr_count:     61
    .vgpr_spill_count: 0
    .wavefront_size: 64
  - .agpr_count:     0
    .args:
      - .address_space:  global
        .offset:         0
        .size:           8
        .value_kind:     global_buffer
      - .address_space:  global
        .offset:         8
        .size:           8
        .value_kind:     global_buffer
      - .actual_access:  write_only
        .address_space:  global
        .offset:         16
        .size:           8
        .value_kind:     global_buffer
      - .actual_access:  write_only
        .address_space:  global
        .offset:         24
        .size:           8
        .value_kind:     global_buffer
      - .actual_access:  read_only
        .address_space:  global
        .offset:         32
        .size:           8
        .value_kind:     global_buffer
      - .offset:         40
        .size:           8
        .value_kind:     by_value
      - .offset:         48
        .size:           8
        .value_kind:     by_value
      - .offset:         56
        .size:           8
        .value_kind:     by_value
      - .offset:         64
        .size:           8
        .value_kind:     by_value
      - .offset:         72
        .size:           8
        .value_kind:     by_value
      - .offset:         80
        .size:           4
        .value_kind:     by_value
      - .offset:         84
        .size:           4
        .value_kind:     by_value
      - .offset:         88
        .size:           4
        .value_kind:     by_value
      - .address_space:  global
        .offset:         96
        .size:           8
        .value_kind:     global_buffer
      - .address_space:  global
        .offset:         104
        .size:           8
        .value_kind:     global_buffer
      - .offset:         112
        .size:           4
        .value_kind:     by_value
      - .offset:         120
        .size:           4
        .value_kind:     hidden_block_count_x
      - .offset:         124
        .size:           4
        .value_kind:     hidden_block_count_y
      - .offset:         128
        .size:           4
        .value_kind:     hidden_block_count_z
      - .offset:         132
        .size:           2
        .value_kind:     hidden_group_size_x
      - .offset:         134
        .size:           2
        .value_kind:     hidden_group_size_y
      - .offset:         136
        .size:           2
        .value_kind:     hidden_group_size_z
      - .offset:         138
        .size:           2
        .value_kind:     hidden_remainder_x
      - .offset:         140
        .size:           2
        .value_kind:     hidden_remainder_y
      - .offset:         142
        .size:           2
        .value_kind:     hidden_remainder_z
      - .offset:         160
        .size:           8
        .value_kind:     hidden_global_offset_x
      - .offset:         168
        .size:           8
        .value_kind:     hidden_global_offset_y
      - .offset:         176
        .size:           8
        .value_kind:     hidden_global_offset_z
      - .offset:         184
        .size:           2
        .value_kind:     hidden_grid_dims
    .group_segment_fixed_size: 0
    .kernarg_segment_align: 8
    .kernarg_segment_size: 376
    .language:       OpenCL C
    .language_version:
      - 2
      - 0
    .max_flat_workgroup_size: 1024
    .name:           _ZN4vllm30reshape_and_cache_flash_kernelIfhLNS_18Fp8KVCacheDataTypeE1EEEvPKT_S4_PT0_S6_PKlllllliiiPKfSA_i
    .private_segment_fixed_size: 0
    .sgpr_count:     78
    .sgpr_spill_count: 0
    .symbol:         _ZN4vllm30reshape_and_cache_flash_kernelIfhLNS_18Fp8KVCacheDataTypeE1EEEvPKT_S4_PT0_S6_PKlllllliiiPKfSA_i.kd
    .uniform_work_group_size: 1
    .uses_dynamic_stack: false
    .vgpr_count:     64
    .vgpr_spill_count: 0
    .wavefront_size: 64
  - .agpr_count:     0
    .args:
      - .address_space:  global
        .offset:         0
        .size:           8
        .value_kind:     global_buffer
      - .address_space:  global
        .offset:         8
        .size:           8
        .value_kind:     global_buffer
      - .actual_access:  write_only
        .address_space:  global
        .offset:         16
        .size:           8
        .value_kind:     global_buffer
      - .actual_access:  write_only
        .address_space:  global
        .offset:         24
        .size:           8
        .value_kind:     global_buffer
      - .actual_access:  read_only
        .address_space:  global
        .offset:         32
        .size:           8
        .value_kind:     global_buffer
      - .offset:         40
        .size:           8
        .value_kind:     by_value
      - .offset:         48
        .size:           8
        .value_kind:     by_value
      - .offset:         56
        .size:           8
        .value_kind:     by_value
      - .offset:         64
        .size:           8
        .value_kind:     by_value
      - .offset:         72
        .size:           8
        .value_kind:     by_value
      - .offset:         80
        .size:           4
        .value_kind:     by_value
      - .offset:         84
        .size:           4
        .value_kind:     by_value
      - .offset:         88
        .size:           4
        .value_kind:     by_value
      - .address_space:  global
        .offset:         96
        .size:           8
        .value_kind:     global_buffer
      - .address_space:  global
        .offset:         104
        .size:           8
        .value_kind:     global_buffer
      - .offset:         112
        .size:           4
        .value_kind:     by_value
      - .offset:         120
        .size:           4
        .value_kind:     hidden_block_count_x
      - .offset:         124
        .size:           4
        .value_kind:     hidden_block_count_y
      - .offset:         128
        .size:           4
        .value_kind:     hidden_block_count_z
      - .offset:         132
        .size:           2
        .value_kind:     hidden_group_size_x
      - .offset:         134
        .size:           2
        .value_kind:     hidden_group_size_y
      - .offset:         136
        .size:           2
        .value_kind:     hidden_group_size_z
      - .offset:         138
        .size:           2
        .value_kind:     hidden_remainder_x
      - .offset:         140
        .size:           2
        .value_kind:     hidden_remainder_y
      - .offset:         142
        .size:           2
        .value_kind:     hidden_remainder_z
      - .offset:         160
        .size:           8
        .value_kind:     hidden_global_offset_x
      - .offset:         168
        .size:           8
        .value_kind:     hidden_global_offset_y
      - .offset:         176
        .size:           8
        .value_kind:     hidden_global_offset_z
      - .offset:         184
        .size:           2
        .value_kind:     hidden_grid_dims
    .group_segment_fixed_size: 0
    .kernarg_segment_align: 8
    .kernarg_segment_size: 376
    .language:       OpenCL C
    .language_version:
      - 2
      - 0
    .max_flat_workgroup_size: 1024
    .name:           _ZN4vllm30reshape_and_cache_flash_kernelIthLNS_18Fp8KVCacheDataTypeE1EEEvPKT_S4_PT0_S6_PKlllllliiiPKfSA_i
    .private_segment_fixed_size: 0
    .sgpr_count:     74
    .sgpr_spill_count: 0
    .symbol:         _ZN4vllm30reshape_and_cache_flash_kernelIthLNS_18Fp8KVCacheDataTypeE1EEEvPKT_S4_PT0_S6_PKlllllliiiPKfSA_i.kd
    .uniform_work_group_size: 1
    .uses_dynamic_stack: false
    .vgpr_count:     61
    .vgpr_spill_count: 0
    .wavefront_size: 64
  - .agpr_count:     0
    .args:
      - .address_space:  global
        .offset:         0
        .size:           8
        .value_kind:     global_buffer
      - .address_space:  global
        .offset:         8
        .size:           8
        .value_kind:     global_buffer
      - .actual_access:  write_only
        .address_space:  global
        .offset:         16
        .size:           8
        .value_kind:     global_buffer
      - .actual_access:  write_only
        .address_space:  global
        .offset:         24
        .size:           8
        .value_kind:     global_buffer
      - .actual_access:  read_only
        .address_space:  global
        .offset:         32
        .size:           8
        .value_kind:     global_buffer
      - .offset:         40
        .size:           8
        .value_kind:     by_value
      - .offset:         48
        .size:           8
        .value_kind:     by_value
      - .offset:         56
        .size:           8
        .value_kind:     by_value
      - .offset:         64
        .size:           8
        .value_kind:     by_value
      - .offset:         72
        .size:           8
        .value_kind:     by_value
      - .offset:         80
        .size:           4
        .value_kind:     by_value
      - .offset:         84
        .size:           4
        .value_kind:     by_value
      - .offset:         88
        .size:           4
        .value_kind:     by_value
      - .address_space:  global
        .offset:         96
        .size:           8
        .value_kind:     global_buffer
      - .address_space:  global
        .offset:         104
        .size:           8
        .value_kind:     global_buffer
      - .offset:         112
        .size:           4
        .value_kind:     by_value
      - .offset:         120
        .size:           4
        .value_kind:     hidden_block_count_x
      - .offset:         124
        .size:           4
        .value_kind:     hidden_block_count_y
      - .offset:         128
        .size:           4
        .value_kind:     hidden_block_count_z
      - .offset:         132
        .size:           2
        .value_kind:     hidden_group_size_x
      - .offset:         134
        .size:           2
        .value_kind:     hidden_group_size_y
      - .offset:         136
        .size:           2
        .value_kind:     hidden_group_size_z
      - .offset:         138
        .size:           2
        .value_kind:     hidden_remainder_x
      - .offset:         140
        .size:           2
        .value_kind:     hidden_remainder_y
      - .offset:         142
        .size:           2
        .value_kind:     hidden_remainder_z
      - .offset:         160
        .size:           8
        .value_kind:     hidden_global_offset_x
      - .offset:         168
        .size:           8
        .value_kind:     hidden_global_offset_y
      - .offset:         176
        .size:           8
        .value_kind:     hidden_global_offset_z
      - .offset:         184
        .size:           2
        .value_kind:     hidden_grid_dims
    .group_segment_fixed_size: 0
    .kernarg_segment_align: 8
    .kernarg_segment_size: 376
    .language:       OpenCL C
    .language_version:
      - 2
      - 0
    .max_flat_workgroup_size: 1024
    .name:           _ZN4vllm30reshape_and_cache_flash_kernelI14__hip_bfloat16hLNS_18Fp8KVCacheDataTypeE1EEEvPKT_S5_PT0_S7_PKlllllliiiPKfSB_i
    .private_segment_fixed_size: 0
    .sgpr_count:     74
    .sgpr_spill_count: 0
    .symbol:         _ZN4vllm30reshape_and_cache_flash_kernelI14__hip_bfloat16hLNS_18Fp8KVCacheDataTypeE1EEEvPKT_S5_PT0_S7_PKlllllliiiPKfSB_i.kd
    .uniform_work_group_size: 1
    .uses_dynamic_stack: false
    .vgpr_count:     61
    .vgpr_spill_count: 0
    .wavefront_size: 64
  - .agpr_count:     0
    .args:
      - .actual_access:  read_only
        .address_space:  global
        .offset:         0
        .size:           8
        .value_kind:     global_buffer
      - .actual_access:  read_only
        .address_space:  global
        .offset:         8
        .size:           8
        .value_kind:     global_buffer
      - .actual_access:  write_only
        .address_space:  global
        .offset:         16
        .size:           8
        .value_kind:     global_buffer
      - .actual_access:  read_only
        .address_space:  global
        .offset:         24
        .size:           8
        .value_kind:     global_buffer
      - .offset:         32
        .size:           4
        .value_kind:     by_value
      - .offset:         36
        .size:           4
        .value_kind:     by_value
      - .offset:         40
        .size:           4
        .value_kind:     by_value
      - .offset:         44
        .size:           4
        .value_kind:     by_value
      - .offset:         48
        .size:           4
        .value_kind:     by_value
      - .offset:         52
        .size:           4
        .value_kind:     by_value
      - .offset:         56
        .size:           4
        .value_kind:     by_value
      - .address_space:  global
        .offset:         64
        .size:           8
        .value_kind:     global_buffer
    .group_segment_fixed_size: 0
    .kernarg_segment_align: 8
    .kernarg_segment_size: 72
    .language:       OpenCL C
    .language_version:
      - 2
      - 0
    .max_flat_workgroup_size: 1024
    .name:           _ZN4vllm30concat_and_cache_ds_mla_kernelIffLNS_18Fp8KVCacheDataTypeE0EEEvPKT_S4_PT0_PKliiiiiiiPKf
    .private_segment_fixed_size: 0
    .sgpr_count:     32
    .sgpr_spill_count: 0
    .symbol:         _ZN4vllm30concat_and_cache_ds_mla_kernelIffLNS_18Fp8KVCacheDataTypeE0EEEvPKT_S4_PT0_PKliiiiiiiPKf.kd
    .uniform_work_group_size: 1
    .uses_dynamic_stack: false
    .vgpr_count:     14
    .vgpr_spill_count: 0
    .wavefront_size: 64
  - .agpr_count:     0
    .args:
      - .actual_access:  read_only
        .address_space:  global
        .offset:         0
        .size:           8
        .value_kind:     global_buffer
      - .actual_access:  read_only
        .address_space:  global
        .offset:         8
        .size:           8
        .value_kind:     global_buffer
      - .actual_access:  write_only
        .address_space:  global
        .offset:         16
        .size:           8
        .value_kind:     global_buffer
      - .actual_access:  read_only
        .address_space:  global
        .offset:         24
        .size:           8
        .value_kind:     global_buffer
      - .offset:         32
        .size:           4
        .value_kind:     by_value
      - .offset:         36
        .size:           4
        .value_kind:     by_value
      - .offset:         40
        .size:           4
        .value_kind:     by_value
      - .offset:         44
        .size:           4
        .value_kind:     by_value
      - .offset:         48
        .size:           4
        .value_kind:     by_value
      - .offset:         52
        .size:           4
        .value_kind:     by_value
      - .offset:         56
        .size:           4
        .value_kind:     by_value
      - .address_space:  global
        .offset:         64
        .size:           8
        .value_kind:     global_buffer
    .group_segment_fixed_size: 0
    .kernarg_segment_align: 8
    .kernarg_segment_size: 72
    .language:       OpenCL C
    .language_version:
      - 2
      - 0
    .max_flat_workgroup_size: 1024
    .name:           _ZN4vllm30concat_and_cache_ds_mla_kernelIttLNS_18Fp8KVCacheDataTypeE0EEEvPKT_S4_PT0_PKliiiiiiiPKf
    .private_segment_fixed_size: 0
    .sgpr_count:     32
    .sgpr_spill_count: 0
    .symbol:         _ZN4vllm30concat_and_cache_ds_mla_kernelIttLNS_18Fp8KVCacheDataTypeE0EEEvPKT_S4_PT0_PKliiiiiiiPKf.kd
    .uniform_work_group_size: 1
    .uses_dynamic_stack: false
    .vgpr_count:     18
    .vgpr_spill_count: 0
    .wavefront_size: 64
  - .agpr_count:     0
    .args:
      - .actual_access:  read_only
        .address_space:  global
        .offset:         0
        .size:           8
        .value_kind:     global_buffer
      - .actual_access:  read_only
        .address_space:  global
        .offset:         8
        .size:           8
        .value_kind:     global_buffer
      - .actual_access:  write_only
        .address_space:  global
        .offset:         16
        .size:           8
        .value_kind:     global_buffer
      - .actual_access:  read_only
        .address_space:  global
        .offset:         24
        .size:           8
        .value_kind:     global_buffer
      - .offset:         32
        .size:           4
        .value_kind:     by_value
      - .offset:         36
        .size:           4
        .value_kind:     by_value
      - .offset:         40
        .size:           4
        .value_kind:     by_value
      - .offset:         44
        .size:           4
        .value_kind:     by_value
      - .offset:         48
        .size:           4
        .value_kind:     by_value
      - .offset:         52
        .size:           4
        .value_kind:     by_value
      - .offset:         56
        .size:           4
        .value_kind:     by_value
      - .address_space:  global
        .offset:         64
        .size:           8
        .value_kind:     global_buffer
    .group_segment_fixed_size: 0
    .kernarg_segment_align: 8
    .kernarg_segment_size: 72
    .language:       OpenCL C
    .language_version:
      - 2
      - 0
    .max_flat_workgroup_size: 1024
    .name:           _ZN4vllm30concat_and_cache_ds_mla_kernelI14__hip_bfloat16S1_LNS_18Fp8KVCacheDataTypeE0EEEvPKT_S5_PT0_PKliiiiiiiPKf
    .private_segment_fixed_size: 0
    .sgpr_count:     32
    .sgpr_spill_count: 0
    .symbol:         _ZN4vllm30concat_and_cache_ds_mla_kernelI14__hip_bfloat16S1_LNS_18Fp8KVCacheDataTypeE0EEEvPKT_S5_PT0_PKliiiiiiiPKf.kd
    .uniform_work_group_size: 1
    .uses_dynamic_stack: false
    .vgpr_count:     18
    .vgpr_spill_count: 0
    .wavefront_size: 64
  - .agpr_count:     0
    .args:
      - .actual_access:  read_only
        .address_space:  global
        .offset:         0
        .size:           8
        .value_kind:     global_buffer
      - .actual_access:  read_only
        .address_space:  global
        .offset:         8
        .size:           8
        .value_kind:     global_buffer
      - .actual_access:  write_only
        .address_space:  global
        .offset:         16
        .size:           8
        .value_kind:     global_buffer
      - .actual_access:  read_only
        .address_space:  global
        .offset:         24
        .size:           8
        .value_kind:     global_buffer
      - .offset:         32
        .size:           4
        .value_kind:     by_value
      - .offset:         36
        .size:           4
        .value_kind:     by_value
      - .offset:         40
        .size:           4
        .value_kind:     by_value
      - .offset:         44
        .size:           4
        .value_kind:     by_value
      - .offset:         48
        .size:           4
        .value_kind:     by_value
      - .offset:         52
        .size:           4
        .value_kind:     by_value
      - .offset:         56
        .size:           4
        .value_kind:     by_value
      - .address_space:  global
        .offset:         64
        .size:           8
        .value_kind:     global_buffer
    .group_segment_fixed_size: 0
    .kernarg_segment_align: 8
    .kernarg_segment_size: 72
    .language:       OpenCL C
    .language_version:
      - 2
      - 0
    .max_flat_workgroup_size: 1024
    .name:           _ZN4vllm30concat_and_cache_ds_mla_kernelIfhLNS_18Fp8KVCacheDataTypeE1EEEvPKT_S4_PT0_PKliiiiiiiPKf
    .private_segment_fixed_size: 0
    .sgpr_count:     32
    .sgpr_spill_count: 0
    .symbol:         _ZN4vllm30concat_and_cache_ds_mla_kernelIfhLNS_18Fp8KVCacheDataTypeE1EEEvPKT_S4_PT0_PKliiiiiiiPKf.kd
    .uniform_work_group_size: 1
    .uses_dynamic_stack: false
    .vgpr_count:     14
    .vgpr_spill_count: 0
    .wavefront_size: 64
  - .agpr_count:     0
    .args:
      - .actual_access:  read_only
        .address_space:  global
        .offset:         0
        .size:           8
        .value_kind:     global_buffer
      - .actual_access:  read_only
        .address_space:  global
        .offset:         8
        .size:           8
        .value_kind:     global_buffer
      - .actual_access:  write_only
        .address_space:  global
        .offset:         16
        .size:           8
        .value_kind:     global_buffer
      - .actual_access:  read_only
        .address_space:  global
        .offset:         24
        .size:           8
        .value_kind:     global_buffer
      - .offset:         32
        .size:           4
        .value_kind:     by_value
      - .offset:         36
        .size:           4
        .value_kind:     by_value
      - .offset:         40
        .size:           4
        .value_kind:     by_value
      - .offset:         44
        .size:           4
        .value_kind:     by_value
      - .offset:         48
        .size:           4
        .value_kind:     by_value
      - .offset:         52
        .size:           4
        .value_kind:     by_value
      - .offset:         56
        .size:           4
        .value_kind:     by_value
      - .address_space:  global
        .offset:         64
        .size:           8
        .value_kind:     global_buffer
    .group_segment_fixed_size: 0
    .kernarg_segment_align: 8
    .kernarg_segment_size: 72
    .language:       OpenCL C
    .language_version:
      - 2
      - 0
    .max_flat_workgroup_size: 1024
    .name:           _ZN4vllm30concat_and_cache_ds_mla_kernelIthLNS_18Fp8KVCacheDataTypeE1EEEvPKT_S4_PT0_PKliiiiiiiPKf
    .private_segment_fixed_size: 0
    .sgpr_count:     32
    .sgpr_spill_count: 0
    .symbol:         _ZN4vllm30concat_and_cache_ds_mla_kernelIthLNS_18Fp8KVCacheDataTypeE1EEEvPKT_S4_PT0_PKliiiiiiiPKf.kd
    .uniform_work_group_size: 1
    .uses_dynamic_stack: false
    .vgpr_count:     18
    .vgpr_spill_count: 0
    .wavefront_size: 64
  - .agpr_count:     0
    .args:
      - .actual_access:  read_only
        .address_space:  global
        .offset:         0
        .size:           8
        .value_kind:     global_buffer
      - .actual_access:  read_only
        .address_space:  global
        .offset:         8
        .size:           8
        .value_kind:     global_buffer
      - .actual_access:  write_only
        .address_space:  global
        .offset:         16
        .size:           8
        .value_kind:     global_buffer
      - .actual_access:  read_only
        .address_space:  global
        .offset:         24
        .size:           8
        .value_kind:     global_buffer
      - .offset:         32
        .size:           4
        .value_kind:     by_value
      - .offset:         36
        .size:           4
        .value_kind:     by_value
      - .offset:         40
        .size:           4
        .value_kind:     by_value
      - .offset:         44
        .size:           4
        .value_kind:     by_value
      - .offset:         48
        .size:           4
        .value_kind:     by_value
      - .offset:         52
        .size:           4
        .value_kind:     by_value
      - .offset:         56
        .size:           4
        .value_kind:     by_value
      - .address_space:  global
        .offset:         64
        .size:           8
        .value_kind:     global_buffer
    .group_segment_fixed_size: 0
    .kernarg_segment_align: 8
    .kernarg_segment_size: 72
    .language:       OpenCL C
    .language_version:
      - 2
      - 0
    .max_flat_workgroup_size: 1024
    .name:           _ZN4vllm30concat_and_cache_ds_mla_kernelI14__hip_bfloat16hLNS_18Fp8KVCacheDataTypeE1EEEvPKT_S5_PT0_PKliiiiiiiPKf
    .private_segment_fixed_size: 0
    .sgpr_count:     32
    .sgpr_spill_count: 0
    .symbol:         _ZN4vllm30concat_and_cache_ds_mla_kernelI14__hip_bfloat16hLNS_18Fp8KVCacheDataTypeE1EEEvPKT_S5_PT0_PKliiiiiiiPKf.kd
    .uniform_work_group_size: 1
    .uses_dynamic_stack: false
    .vgpr_count:     18
    .vgpr_spill_count: 0
    .wavefront_size: 64
  - .agpr_count:     0
    .args:
      - .actual_access:  read_only
        .address_space:  global
        .offset:         0
        .size:           8
        .value_kind:     global_buffer
      - .actual_access:  read_only
        .address_space:  global
        .offset:         8
        .size:           8
        .value_kind:     global_buffer
      - .actual_access:  write_only
        .address_space:  global
        .offset:         16
        .size:           8
        .value_kind:     global_buffer
      - .actual_access:  read_only
        .address_space:  global
        .offset:         24
        .size:           8
        .value_kind:     global_buffer
      - .offset:         32
        .size:           4
        .value_kind:     by_value
      - .offset:         36
        .size:           4
        .value_kind:     by_value
      - .offset:         40
        .size:           4
        .value_kind:     by_value
      - .offset:         44
        .size:           4
        .value_kind:     by_value
      - .offset:         48
        .size:           4
        .value_kind:     by_value
      - .offset:         52
        .size:           4
        .value_kind:     by_value
      - .offset:         56
        .size:           4
        .value_kind:     by_value
      - .address_space:  global
        .offset:         64
        .size:           8
        .value_kind:     global_buffer
      - .offset:         72
        .size:           4
        .value_kind:     hidden_block_count_x
      - .offset:         76
        .size:           4
        .value_kind:     hidden_block_count_y
      - .offset:         80
        .size:           4
        .value_kind:     hidden_block_count_z
      - .offset:         84
        .size:           2
        .value_kind:     hidden_group_size_x
      - .offset:         86
        .size:           2
        .value_kind:     hidden_group_size_y
      - .offset:         88
        .size:           2
        .value_kind:     hidden_group_size_z
      - .offset:         90
        .size:           2
        .value_kind:     hidden_remainder_x
      - .offset:         92
        .size:           2
        .value_kind:     hidden_remainder_y
      - .offset:         94
        .size:           2
        .value_kind:     hidden_remainder_z
      - .offset:         112
        .size:           8
        .value_kind:     hidden_global_offset_x
      - .offset:         120
        .size:           8
        .value_kind:     hidden_global_offset_y
      - .offset:         128
        .size:           8
        .value_kind:     hidden_global_offset_z
      - .offset:         136
        .size:           2
        .value_kind:     hidden_grid_dims
    .group_segment_fixed_size: 0
    .kernarg_segment_align: 8
    .kernarg_segment_size: 328
    .language:       OpenCL C
    .language_version:
      - 2
      - 0
    .max_flat_workgroup_size: 1024
    .name:           _ZN4vllm27concat_and_cache_mla_kernelIffLNS_18Fp8KVCacheDataTypeE0EEEvPKT_S4_PT0_PKliiiiiiiPKf
    .private_segment_fixed_size: 0
    .sgpr_count:     37
    .sgpr_spill_count: 0
    .symbol:         _ZN4vllm27concat_and_cache_mla_kernelIffLNS_18Fp8KVCacheDataTypeE0EEEvPKT_S4_PT0_PKliiiiiiiPKf.kd
    .uniform_work_group_size: 1
    .uses_dynamic_stack: false
    .vgpr_count:     8
    .vgpr_spill_count: 0
    .wavefront_size: 64
  - .agpr_count:     0
    .args:
      - .actual_access:  read_only
        .address_space:  global
        .offset:         0
        .size:           8
        .value_kind:     global_buffer
      - .actual_access:  read_only
        .address_space:  global
        .offset:         8
        .size:           8
        .value_kind:     global_buffer
      - .actual_access:  write_only
        .address_space:  global
        .offset:         16
        .size:           8
        .value_kind:     global_buffer
      - .actual_access:  read_only
        .address_space:  global
        .offset:         24
        .size:           8
        .value_kind:     global_buffer
      - .offset:         32
        .size:           4
        .value_kind:     by_value
      - .offset:         36
        .size:           4
        .value_kind:     by_value
      - .offset:         40
        .size:           4
        .value_kind:     by_value
      - .offset:         44
        .size:           4
        .value_kind:     by_value
      - .offset:         48
        .size:           4
        .value_kind:     by_value
      - .offset:         52
        .size:           4
        .value_kind:     by_value
      - .offset:         56
        .size:           4
        .value_kind:     by_value
      - .address_space:  global
        .offset:         64
        .size:           8
        .value_kind:     global_buffer
      - .offset:         72
        .size:           4
        .value_kind:     hidden_block_count_x
      - .offset:         76
        .size:           4
        .value_kind:     hidden_block_count_y
      - .offset:         80
        .size:           4
        .value_kind:     hidden_block_count_z
      - .offset:         84
        .size:           2
        .value_kind:     hidden_group_size_x
      - .offset:         86
        .size:           2
        .value_kind:     hidden_group_size_y
      - .offset:         88
        .size:           2
        .value_kind:     hidden_group_size_z
      - .offset:         90
        .size:           2
        .value_kind:     hidden_remainder_x
      - .offset:         92
        .size:           2
        .value_kind:     hidden_remainder_y
      - .offset:         94
        .size:           2
        .value_kind:     hidden_remainder_z
      - .offset:         112
        .size:           8
        .value_kind:     hidden_global_offset_x
      - .offset:         120
        .size:           8
        .value_kind:     hidden_global_offset_y
      - .offset:         128
        .size:           8
        .value_kind:     hidden_global_offset_z
      - .offset:         136
        .size:           2
        .value_kind:     hidden_grid_dims
    .group_segment_fixed_size: 0
    .kernarg_segment_align: 8
    .kernarg_segment_size: 328
    .language:       OpenCL C
    .language_version:
      - 2
      - 0
    .max_flat_workgroup_size: 1024
    .name:           _ZN4vllm27concat_and_cache_mla_kernelIttLNS_18Fp8KVCacheDataTypeE0EEEvPKT_S4_PT0_PKliiiiiiiPKf
    .private_segment_fixed_size: 0
    .sgpr_count:     37
    .sgpr_spill_count: 0
    .symbol:         _ZN4vllm27concat_and_cache_mla_kernelIttLNS_18Fp8KVCacheDataTypeE0EEEvPKT_S4_PT0_PKliiiiiiiPKf.kd
    .uniform_work_group_size: 1
    .uses_dynamic_stack: false
    .vgpr_count:     8
    .vgpr_spill_count: 0
    .wavefront_size: 64
  - .agpr_count:     0
    .args:
      - .actual_access:  read_only
        .address_space:  global
        .offset:         0
        .size:           8
        .value_kind:     global_buffer
      - .actual_access:  read_only
        .address_space:  global
        .offset:         8
        .size:           8
        .value_kind:     global_buffer
      - .actual_access:  write_only
        .address_space:  global
        .offset:         16
        .size:           8
        .value_kind:     global_buffer
      - .actual_access:  read_only
        .address_space:  global
        .offset:         24
        .size:           8
        .value_kind:     global_buffer
      - .offset:         32
        .size:           4
        .value_kind:     by_value
      - .offset:         36
        .size:           4
        .value_kind:     by_value
      - .offset:         40
        .size:           4
        .value_kind:     by_value
      - .offset:         44
        .size:           4
        .value_kind:     by_value
      - .offset:         48
        .size:           4
        .value_kind:     by_value
      - .offset:         52
        .size:           4
        .value_kind:     by_value
      - .offset:         56
        .size:           4
        .value_kind:     by_value
      - .address_space:  global
        .offset:         64
        .size:           8
        .value_kind:     global_buffer
      - .offset:         72
        .size:           4
        .value_kind:     hidden_block_count_x
      - .offset:         76
        .size:           4
        .value_kind:     hidden_block_count_y
      - .offset:         80
        .size:           4
        .value_kind:     hidden_block_count_z
      - .offset:         84
        .size:           2
        .value_kind:     hidden_group_size_x
      - .offset:         86
        .size:           2
        .value_kind:     hidden_group_size_y
      - .offset:         88
        .size:           2
        .value_kind:     hidden_group_size_z
      - .offset:         90
        .size:           2
        .value_kind:     hidden_remainder_x
      - .offset:         92
        .size:           2
        .value_kind:     hidden_remainder_y
      - .offset:         94
        .size:           2
        .value_kind:     hidden_remainder_z
      - .offset:         112
        .size:           8
        .value_kind:     hidden_global_offset_x
      - .offset:         120
        .size:           8
        .value_kind:     hidden_global_offset_y
      - .offset:         128
        .size:           8
        .value_kind:     hidden_global_offset_z
      - .offset:         136
        .size:           2
        .value_kind:     hidden_grid_dims
    .group_segment_fixed_size: 0
    .kernarg_segment_align: 8
    .kernarg_segment_size: 328
    .language:       OpenCL C
    .language_version:
      - 2
      - 0
    .max_flat_workgroup_size: 1024
    .name:           _ZN4vllm27concat_and_cache_mla_kernelI14__hip_bfloat16S1_LNS_18Fp8KVCacheDataTypeE0EEEvPKT_S5_PT0_PKliiiiiiiPKf
    .private_segment_fixed_size: 0
    .sgpr_count:     37
    .sgpr_spill_count: 0
    .symbol:         _ZN4vllm27concat_and_cache_mla_kernelI14__hip_bfloat16S1_LNS_18Fp8KVCacheDataTypeE0EEEvPKT_S5_PT0_PKliiiiiiiPKf.kd
    .uniform_work_group_size: 1
    .uses_dynamic_stack: false
    .vgpr_count:     8
    .vgpr_spill_count: 0
    .wavefront_size: 64
  - .agpr_count:     0
    .args:
      - .actual_access:  read_only
        .address_space:  global
        .offset:         0
        .size:           8
        .value_kind:     global_buffer
      - .actual_access:  read_only
        .address_space:  global
        .offset:         8
        .size:           8
        .value_kind:     global_buffer
      - .actual_access:  write_only
        .address_space:  global
        .offset:         16
        .size:           8
        .value_kind:     global_buffer
      - .actual_access:  read_only
        .address_space:  global
        .offset:         24
        .size:           8
        .value_kind:     global_buffer
      - .offset:         32
        .size:           4
        .value_kind:     by_value
      - .offset:         36
        .size:           4
        .value_kind:     by_value
      - .offset:         40
        .size:           4
        .value_kind:     by_value
      - .offset:         44
        .size:           4
        .value_kind:     by_value
      - .offset:         48
        .size:           4
        .value_kind:     by_value
      - .offset:         52
        .size:           4
        .value_kind:     by_value
      - .offset:         56
        .size:           4
        .value_kind:     by_value
      - .address_space:  global
        .offset:         64
        .size:           8
        .value_kind:     global_buffer
      - .offset:         72
        .size:           4
        .value_kind:     hidden_block_count_x
      - .offset:         76
        .size:           4
        .value_kind:     hidden_block_count_y
      - .offset:         80
        .size:           4
        .value_kind:     hidden_block_count_z
      - .offset:         84
        .size:           2
        .value_kind:     hidden_group_size_x
      - .offset:         86
        .size:           2
        .value_kind:     hidden_group_size_y
      - .offset:         88
        .size:           2
        .value_kind:     hidden_group_size_z
      - .offset:         90
        .size:           2
        .value_kind:     hidden_remainder_x
      - .offset:         92
        .size:           2
        .value_kind:     hidden_remainder_y
      - .offset:         94
        .size:           2
        .value_kind:     hidden_remainder_z
      - .offset:         112
        .size:           8
        .value_kind:     hidden_global_offset_x
      - .offset:         120
        .size:           8
        .value_kind:     hidden_global_offset_y
      - .offset:         128
        .size:           8
        .value_kind:     hidden_global_offset_z
      - .offset:         136
        .size:           2
        .value_kind:     hidden_grid_dims
    .group_segment_fixed_size: 0
    .kernarg_segment_align: 8
    .kernarg_segment_size: 328
    .language:       OpenCL C
    .language_version:
      - 2
      - 0
    .max_flat_workgroup_size: 1024
    .name:           _ZN4vllm27concat_and_cache_mla_kernelIfhLNS_18Fp8KVCacheDataTypeE1EEEvPKT_S4_PT0_PKliiiiiiiPKf
    .private_segment_fixed_size: 0
    .sgpr_count:     44
    .sgpr_spill_count: 0
    .symbol:         _ZN4vllm27concat_and_cache_mla_kernelIfhLNS_18Fp8KVCacheDataTypeE1EEEvPKT_S4_PT0_PKliiiiiiiPKf.kd
    .uniform_work_group_size: 1
    .uses_dynamic_stack: false
    .vgpr_count:     11
    .vgpr_spill_count: 0
    .wavefront_size: 64
  - .agpr_count:     0
    .args:
      - .actual_access:  read_only
        .address_space:  global
        .offset:         0
        .size:           8
        .value_kind:     global_buffer
      - .actual_access:  read_only
        .address_space:  global
        .offset:         8
        .size:           8
        .value_kind:     global_buffer
      - .actual_access:  write_only
        .address_space:  global
        .offset:         16
        .size:           8
        .value_kind:     global_buffer
      - .actual_access:  read_only
        .address_space:  global
        .offset:         24
        .size:           8
        .value_kind:     global_buffer
      - .offset:         32
        .size:           4
        .value_kind:     by_value
      - .offset:         36
        .size:           4
        .value_kind:     by_value
      - .offset:         40
        .size:           4
        .value_kind:     by_value
      - .offset:         44
        .size:           4
        .value_kind:     by_value
      - .offset:         48
        .size:           4
        .value_kind:     by_value
      - .offset:         52
        .size:           4
        .value_kind:     by_value
      - .offset:         56
        .size:           4
        .value_kind:     by_value
      - .address_space:  global
        .offset:         64
        .size:           8
        .value_kind:     global_buffer
      - .offset:         72
        .size:           4
        .value_kind:     hidden_block_count_x
      - .offset:         76
        .size:           4
        .value_kind:     hidden_block_count_y
      - .offset:         80
        .size:           4
        .value_kind:     hidden_block_count_z
      - .offset:         84
        .size:           2
        .value_kind:     hidden_group_size_x
      - .offset:         86
        .size:           2
        .value_kind:     hidden_group_size_y
      - .offset:         88
        .size:           2
        .value_kind:     hidden_group_size_z
      - .offset:         90
        .size:           2
        .value_kind:     hidden_remainder_x
      - .offset:         92
        .size:           2
        .value_kind:     hidden_remainder_y
      - .offset:         94
        .size:           2
        .value_kind:     hidden_remainder_z
      - .offset:         112
        .size:           8
        .value_kind:     hidden_global_offset_x
      - .offset:         120
        .size:           8
        .value_kind:     hidden_global_offset_y
      - .offset:         128
        .size:           8
        .value_kind:     hidden_global_offset_z
      - .offset:         136
        .size:           2
        .value_kind:     hidden_grid_dims
    .group_segment_fixed_size: 0
    .kernarg_segment_align: 8
    .kernarg_segment_size: 328
    .language:       OpenCL C
    .language_version:
      - 2
      - 0
    .max_flat_workgroup_size: 1024
    .name:           _ZN4vllm27concat_and_cache_mla_kernelIthLNS_18Fp8KVCacheDataTypeE1EEEvPKT_S4_PT0_PKliiiiiiiPKf
    .private_segment_fixed_size: 0
    .sgpr_count:     44
    .sgpr_spill_count: 0
    .symbol:         _ZN4vllm27concat_and_cache_mla_kernelIthLNS_18Fp8KVCacheDataTypeE1EEEvPKT_S4_PT0_PKliiiiiiiPKf.kd
    .uniform_work_group_size: 1
    .uses_dynamic_stack: false
    .vgpr_count:     10
    .vgpr_spill_count: 0
    .wavefront_size: 64
  - .agpr_count:     0
    .args:
      - .actual_access:  read_only
        .address_space:  global
        .offset:         0
        .size:           8
        .value_kind:     global_buffer
      - .actual_access:  read_only
        .address_space:  global
        .offset:         8
        .size:           8
        .value_kind:     global_buffer
      - .actual_access:  write_only
        .address_space:  global
        .offset:         16
        .size:           8
        .value_kind:     global_buffer
      - .actual_access:  read_only
        .address_space:  global
        .offset:         24
        .size:           8
        .value_kind:     global_buffer
      - .offset:         32
        .size:           4
        .value_kind:     by_value
      - .offset:         36
        .size:           4
        .value_kind:     by_value
      - .offset:         40
        .size:           4
        .value_kind:     by_value
      - .offset:         44
        .size:           4
        .value_kind:     by_value
      - .offset:         48
        .size:           4
        .value_kind:     by_value
      - .offset:         52
        .size:           4
        .value_kind:     by_value
      - .offset:         56
        .size:           4
        .value_kind:     by_value
      - .address_space:  global
        .offset:         64
        .size:           8
        .value_kind:     global_buffer
      - .offset:         72
        .size:           4
        .value_kind:     hidden_block_count_x
      - .offset:         76
        .size:           4
        .value_kind:     hidden_block_count_y
      - .offset:         80
        .size:           4
        .value_kind:     hidden_block_count_z
      - .offset:         84
        .size:           2
        .value_kind:     hidden_group_size_x
      - .offset:         86
        .size:           2
        .value_kind:     hidden_group_size_y
      - .offset:         88
        .size:           2
        .value_kind:     hidden_group_size_z
      - .offset:         90
        .size:           2
        .value_kind:     hidden_remainder_x
      - .offset:         92
        .size:           2
        .value_kind:     hidden_remainder_y
      - .offset:         94
        .size:           2
        .value_kind:     hidden_remainder_z
      - .offset:         112
        .size:           8
        .value_kind:     hidden_global_offset_x
      - .offset:         120
        .size:           8
        .value_kind:     hidden_global_offset_y
      - .offset:         128
        .size:           8
        .value_kind:     hidden_global_offset_z
      - .offset:         136
        .size:           2
        .value_kind:     hidden_grid_dims
    .group_segment_fixed_size: 0
    .kernarg_segment_align: 8
    .kernarg_segment_size: 328
    .language:       OpenCL C
    .language_version:
      - 2
      - 0
    .max_flat_workgroup_size: 1024
    .name:           _ZN4vllm27concat_and_cache_mla_kernelI14__hip_bfloat16hLNS_18Fp8KVCacheDataTypeE1EEEvPKT_S5_PT0_PKliiiiiiiPKf
    .private_segment_fixed_size: 0
    .sgpr_count:     44
    .sgpr_spill_count: 0
    .symbol:         _ZN4vllm27concat_and_cache_mla_kernelI14__hip_bfloat16hLNS_18Fp8KVCacheDataTypeE1EEEvPKT_S5_PT0_PKliiiiiiiPKf.kd
    .uniform_work_group_size: 1
    .uses_dynamic_stack: false
    .vgpr_count:     11
    .vgpr_spill_count: 0
    .wavefront_size: 64
  - .agpr_count:     0
    .args:
      - .actual_access:  read_only
        .address_space:  global
        .offset:         0
        .size:           8
        .value_kind:     global_buffer
      - .actual_access:  read_only
        .address_space:  global
        .offset:         8
        .size:           8
        .value_kind:     global_buffer
      - .offset:         16
        .size:           4
        .value_kind:     by_value
      - .offset:         24
        .size:           8
        .value_kind:     by_value
      - .offset:         32
        .size:           4
        .value_kind:     hidden_block_count_x
      - .offset:         36
        .size:           4
        .value_kind:     hidden_block_count_y
      - .offset:         40
        .size:           4
        .value_kind:     hidden_block_count_z
      - .offset:         44
        .size:           2
        .value_kind:     hidden_group_size_x
      - .offset:         46
        .size:           2
        .value_kind:     hidden_group_size_y
      - .offset:         48
        .size:           2
        .value_kind:     hidden_group_size_z
      - .offset:         50
        .size:           2
        .value_kind:     hidden_remainder_x
      - .offset:         52
        .size:           2
        .value_kind:     hidden_remainder_y
      - .offset:         54
        .size:           2
        .value_kind:     hidden_remainder_z
      - .offset:         72
        .size:           8
        .value_kind:     hidden_global_offset_x
      - .offset:         80
        .size:           8
        .value_kind:     hidden_global_offset_y
      - .offset:         88
        .size:           8
        .value_kind:     hidden_global_offset_z
      - .offset:         96
        .size:           2
        .value_kind:     hidden_grid_dims
      - .offset:         112
        .size:           8
        .value_kind:     hidden_hostcall_buffer
    .group_segment_fixed_size: 0
    .kernarg_segment_align: 8
    .kernarg_segment_size: 288
    .language:       OpenCL C
    .language_version:
      - 2
      - 0
    .max_flat_workgroup_size: 1024
    .name:           _ZN4vllm18convert_fp8_kernelIhfLNS_18Fp8KVCacheDataTypeE0EEEvPKT0_PT_fl
    .private_segment_fixed_size: 64
    .sgpr_count:     40
    .sgpr_spill_count: 0
    .symbol:         _ZN4vllm18convert_fp8_kernelIhfLNS_18Fp8KVCacheDataTypeE0EEEvPKT0_PT_fl.kd
    .uniform_work_group_size: 1
    .uses_dynamic_stack: false
    .vgpr_count:     53
    .vgpr_spill_count: 0
    .wavefront_size: 64
  - .agpr_count:     0
    .args:
      - .actual_access:  read_only
        .address_space:  global
        .offset:         0
        .size:           8
        .value_kind:     global_buffer
      - .actual_access:  read_only
        .address_space:  global
        .offset:         8
        .size:           8
        .value_kind:     global_buffer
      - .offset:         16
        .size:           4
        .value_kind:     by_value
      - .offset:         24
        .size:           8
        .value_kind:     by_value
      - .offset:         32
        .size:           4
        .value_kind:     hidden_block_count_x
      - .offset:         36
        .size:           4
        .value_kind:     hidden_block_count_y
      - .offset:         40
        .size:           4
        .value_kind:     hidden_block_count_z
      - .offset:         44
        .size:           2
        .value_kind:     hidden_group_size_x
      - .offset:         46
        .size:           2
        .value_kind:     hidden_group_size_y
      - .offset:         48
        .size:           2
        .value_kind:     hidden_group_size_z
      - .offset:         50
        .size:           2
        .value_kind:     hidden_remainder_x
      - .offset:         52
        .size:           2
        .value_kind:     hidden_remainder_y
      - .offset:         54
        .size:           2
        .value_kind:     hidden_remainder_z
      - .offset:         72
        .size:           8
        .value_kind:     hidden_global_offset_x
      - .offset:         80
        .size:           8
        .value_kind:     hidden_global_offset_y
      - .offset:         88
        .size:           8
        .value_kind:     hidden_global_offset_z
      - .offset:         96
        .size:           2
        .value_kind:     hidden_grid_dims
      - .offset:         112
        .size:           8
        .value_kind:     hidden_hostcall_buffer
    .group_segment_fixed_size: 0
    .kernarg_segment_align: 8
    .kernarg_segment_size: 288
    .language:       OpenCL C
    .language_version:
      - 2
      - 0
    .max_flat_workgroup_size: 1024
    .name:           _ZN4vllm18convert_fp8_kernelIhtLNS_18Fp8KVCacheDataTypeE0EEEvPKT0_PT_fl
    .private_segment_fixed_size: 64
    .sgpr_count:     40
    .sgpr_spill_count: 0
    .symbol:         _ZN4vllm18convert_fp8_kernelIhtLNS_18Fp8KVCacheDataTypeE0EEEvPKT0_PT_fl.kd
    .uniform_work_group_size: 1
    .uses_dynamic_stack: false
    .vgpr_count:     53
    .vgpr_spill_count: 0
    .wavefront_size: 64
  - .agpr_count:     0
    .args:
      - .actual_access:  read_only
        .address_space:  global
        .offset:         0
        .size:           8
        .value_kind:     global_buffer
      - .actual_access:  read_only
        .address_space:  global
        .offset:         8
        .size:           8
        .value_kind:     global_buffer
      - .offset:         16
        .size:           4
        .value_kind:     by_value
      - .offset:         24
        .size:           8
        .value_kind:     by_value
      - .offset:         32
        .size:           4
        .value_kind:     hidden_block_count_x
      - .offset:         36
        .size:           4
        .value_kind:     hidden_block_count_y
      - .offset:         40
        .size:           4
        .value_kind:     hidden_block_count_z
      - .offset:         44
        .size:           2
        .value_kind:     hidden_group_size_x
      - .offset:         46
        .size:           2
        .value_kind:     hidden_group_size_y
      - .offset:         48
        .size:           2
        .value_kind:     hidden_group_size_z
      - .offset:         50
        .size:           2
        .value_kind:     hidden_remainder_x
      - .offset:         52
        .size:           2
        .value_kind:     hidden_remainder_y
      - .offset:         54
        .size:           2
        .value_kind:     hidden_remainder_z
      - .offset:         72
        .size:           8
        .value_kind:     hidden_global_offset_x
      - .offset:         80
        .size:           8
        .value_kind:     hidden_global_offset_y
      - .offset:         88
        .size:           8
        .value_kind:     hidden_global_offset_z
      - .offset:         96
        .size:           2
        .value_kind:     hidden_grid_dims
      - .offset:         112
        .size:           8
        .value_kind:     hidden_hostcall_buffer
    .group_segment_fixed_size: 0
    .kernarg_segment_align: 8
    .kernarg_segment_size: 288
    .language:       OpenCL C
    .language_version:
      - 2
      - 0
    .max_flat_workgroup_size: 1024
    .name:           _ZN4vllm18convert_fp8_kernelIh14__hip_bfloat16LNS_18Fp8KVCacheDataTypeE0EEEvPKT0_PT_fl
    .private_segment_fixed_size: 64
    .sgpr_count:     40
    .sgpr_spill_count: 0
    .symbol:         _ZN4vllm18convert_fp8_kernelIh14__hip_bfloat16LNS_18Fp8KVCacheDataTypeE0EEEvPKT0_PT_fl.kd
    .uniform_work_group_size: 1
    .uses_dynamic_stack: false
    .vgpr_count:     53
    .vgpr_spill_count: 0
    .wavefront_size: 64
  - .agpr_count:     0
    .args:
      - .actual_access:  read_only
        .address_space:  global
        .offset:         0
        .size:           8
        .value_kind:     global_buffer
      - .actual_access:  read_only
        .address_space:  global
        .offset:         8
        .size:           8
        .value_kind:     global_buffer
      - .offset:         16
        .size:           4
        .value_kind:     by_value
      - .offset:         24
        .size:           8
        .value_kind:     by_value
      - .offset:         32
        .size:           4
        .value_kind:     hidden_block_count_x
      - .offset:         36
        .size:           4
        .value_kind:     hidden_block_count_y
      - .offset:         40
        .size:           4
        .value_kind:     hidden_block_count_z
      - .offset:         44
        .size:           2
        .value_kind:     hidden_group_size_x
      - .offset:         46
        .size:           2
        .value_kind:     hidden_group_size_y
      - .offset:         48
        .size:           2
        .value_kind:     hidden_group_size_z
      - .offset:         50
        .size:           2
        .value_kind:     hidden_remainder_x
      - .offset:         52
        .size:           2
        .value_kind:     hidden_remainder_y
      - .offset:         54
        .size:           2
        .value_kind:     hidden_remainder_z
      - .offset:         72
        .size:           8
        .value_kind:     hidden_global_offset_x
      - .offset:         80
        .size:           8
        .value_kind:     hidden_global_offset_y
      - .offset:         88
        .size:           8
        .value_kind:     hidden_global_offset_z
      - .offset:         96
        .size:           2
        .value_kind:     hidden_grid_dims
      - .offset:         112
        .size:           8
        .value_kind:     hidden_hostcall_buffer
    .group_segment_fixed_size: 0
    .kernarg_segment_align: 8
    .kernarg_segment_size: 288
    .language:       OpenCL C
    .language_version:
      - 2
      - 0
    .max_flat_workgroup_size: 1024
    .name:           _ZN4vllm18convert_fp8_kernelIfhLNS_18Fp8KVCacheDataTypeE0EEEvPKT0_PT_fl
    .private_segment_fixed_size: 64
    .sgpr_count:     40
    .sgpr_spill_count: 0
    .symbol:         _ZN4vllm18convert_fp8_kernelIfhLNS_18Fp8KVCacheDataTypeE0EEEvPKT0_PT_fl.kd
    .uniform_work_group_size: 1
    .uses_dynamic_stack: false
    .vgpr_count:     53
    .vgpr_spill_count: 0
    .wavefront_size: 64
  - .agpr_count:     0
    .args:
      - .actual_access:  read_only
        .address_space:  global
        .offset:         0
        .size:           8
        .value_kind:     global_buffer
      - .actual_access:  read_only
        .address_space:  global
        .offset:         8
        .size:           8
        .value_kind:     global_buffer
      - .offset:         16
        .size:           4
        .value_kind:     by_value
      - .offset:         24
        .size:           8
        .value_kind:     by_value
      - .offset:         32
        .size:           4
        .value_kind:     hidden_block_count_x
      - .offset:         36
        .size:           4
        .value_kind:     hidden_block_count_y
      - .offset:         40
        .size:           4
        .value_kind:     hidden_block_count_z
      - .offset:         44
        .size:           2
        .value_kind:     hidden_group_size_x
      - .offset:         46
        .size:           2
        .value_kind:     hidden_group_size_y
      - .offset:         48
        .size:           2
        .value_kind:     hidden_group_size_z
      - .offset:         50
        .size:           2
        .value_kind:     hidden_remainder_x
      - .offset:         52
        .size:           2
        .value_kind:     hidden_remainder_y
      - .offset:         54
        .size:           2
        .value_kind:     hidden_remainder_z
      - .offset:         72
        .size:           8
        .value_kind:     hidden_global_offset_x
      - .offset:         80
        .size:           8
        .value_kind:     hidden_global_offset_y
      - .offset:         88
        .size:           8
        .value_kind:     hidden_global_offset_z
      - .offset:         96
        .size:           2
        .value_kind:     hidden_grid_dims
      - .offset:         112
        .size:           8
        .value_kind:     hidden_hostcall_buffer
    .group_segment_fixed_size: 0
    .kernarg_segment_align: 8
    .kernarg_segment_size: 288
    .language:       OpenCL C
    .language_version:
      - 2
      - 0
    .max_flat_workgroup_size: 1024
    .name:           _ZN4vllm18convert_fp8_kernelIthLNS_18Fp8KVCacheDataTypeE0EEEvPKT0_PT_fl
    .private_segment_fixed_size: 64
    .sgpr_count:     40
    .sgpr_spill_count: 0
    .symbol:         _ZN4vllm18convert_fp8_kernelIthLNS_18Fp8KVCacheDataTypeE0EEEvPKT0_PT_fl.kd
    .uniform_work_group_size: 1
    .uses_dynamic_stack: false
    .vgpr_count:     53
    .vgpr_spill_count: 0
    .wavefront_size: 64
  - .agpr_count:     0
    .args:
      - .actual_access:  read_only
        .address_space:  global
        .offset:         0
        .size:           8
        .value_kind:     global_buffer
      - .actual_access:  read_only
        .address_space:  global
        .offset:         8
        .size:           8
        .value_kind:     global_buffer
      - .offset:         16
        .size:           4
        .value_kind:     by_value
      - .offset:         24
        .size:           8
        .value_kind:     by_value
      - .offset:         32
        .size:           4
        .value_kind:     hidden_block_count_x
      - .offset:         36
        .size:           4
        .value_kind:     hidden_block_count_y
      - .offset:         40
        .size:           4
        .value_kind:     hidden_block_count_z
      - .offset:         44
        .size:           2
        .value_kind:     hidden_group_size_x
      - .offset:         46
        .size:           2
        .value_kind:     hidden_group_size_y
      - .offset:         48
        .size:           2
        .value_kind:     hidden_group_size_z
      - .offset:         50
        .size:           2
        .value_kind:     hidden_remainder_x
      - .offset:         52
        .size:           2
        .value_kind:     hidden_remainder_y
      - .offset:         54
        .size:           2
        .value_kind:     hidden_remainder_z
      - .offset:         72
        .size:           8
        .value_kind:     hidden_global_offset_x
      - .offset:         80
        .size:           8
        .value_kind:     hidden_global_offset_y
      - .offset:         88
        .size:           8
        .value_kind:     hidden_global_offset_z
      - .offset:         96
        .size:           2
        .value_kind:     hidden_grid_dims
      - .offset:         112
        .size:           8
        .value_kind:     hidden_hostcall_buffer
    .group_segment_fixed_size: 0
    .kernarg_segment_align: 8
    .kernarg_segment_size: 288
    .language:       OpenCL C
    .language_version:
      - 2
      - 0
    .max_flat_workgroup_size: 1024
    .name:           _ZN4vllm18convert_fp8_kernelI14__hip_bfloat16hLNS_18Fp8KVCacheDataTypeE0EEEvPKT0_PT_fl
    .private_segment_fixed_size: 64
    .sgpr_count:     40
    .sgpr_spill_count: 0
    .symbol:         _ZN4vllm18convert_fp8_kernelI14__hip_bfloat16hLNS_18Fp8KVCacheDataTypeE0EEEvPKT0_PT_fl.kd
    .uniform_work_group_size: 1
    .uses_dynamic_stack: false
    .vgpr_count:     53
    .vgpr_spill_count: 0
    .wavefront_size: 64
  - .agpr_count:     0
    .args:
      - .actual_access:  read_only
        .address_space:  global
        .offset:         0
        .size:           8
        .value_kind:     global_buffer
      - .actual_access:  write_only
        .address_space:  global
        .offset:         8
        .size:           8
        .value_kind:     global_buffer
      - .offset:         16
        .size:           4
        .value_kind:     by_value
      - .offset:         24
        .size:           8
        .value_kind:     by_value
      - .offset:         32
        .size:           4
        .value_kind:     hidden_block_count_x
      - .offset:         36
        .size:           4
        .value_kind:     hidden_block_count_y
      - .offset:         40
        .size:           4
        .value_kind:     hidden_block_count_z
      - .offset:         44
        .size:           2
        .value_kind:     hidden_group_size_x
      - .offset:         46
        .size:           2
        .value_kind:     hidden_group_size_y
      - .offset:         48
        .size:           2
        .value_kind:     hidden_group_size_z
      - .offset:         50
        .size:           2
        .value_kind:     hidden_remainder_x
      - .offset:         52
        .size:           2
        .value_kind:     hidden_remainder_y
      - .offset:         54
        .size:           2
        .value_kind:     hidden_remainder_z
      - .offset:         72
        .size:           8
        .value_kind:     hidden_global_offset_x
      - .offset:         80
        .size:           8
        .value_kind:     hidden_global_offset_y
      - .offset:         88
        .size:           8
        .value_kind:     hidden_global_offset_z
      - .offset:         96
        .size:           2
        .value_kind:     hidden_grid_dims
    .group_segment_fixed_size: 0
    .kernarg_segment_align: 8
    .kernarg_segment_size: 288
    .language:       OpenCL C
    .language_version:
      - 2
      - 0
    .max_flat_workgroup_size: 1024
    .name:           _ZN4vllm18convert_fp8_kernelIhfLNS_18Fp8KVCacheDataTypeE1EEEvPKT0_PT_fl
    .private_segment_fixed_size: 0
    .sgpr_count:     22
    .sgpr_spill_count: 0
    .symbol:         _ZN4vllm18convert_fp8_kernelIhfLNS_18Fp8KVCacheDataTypeE1EEEvPKT0_PT_fl.kd
    .uniform_work_group_size: 1
    .uses_dynamic_stack: false
    .vgpr_count:     14
    .vgpr_spill_count: 0
    .wavefront_size: 64
  - .agpr_count:     0
    .args:
      - .actual_access:  read_only
        .address_space:  global
        .offset:         0
        .size:           8
        .value_kind:     global_buffer
      - .actual_access:  write_only
        .address_space:  global
        .offset:         8
        .size:           8
        .value_kind:     global_buffer
      - .offset:         16
        .size:           4
        .value_kind:     by_value
      - .offset:         24
        .size:           8
        .value_kind:     by_value
      - .offset:         32
        .size:           4
        .value_kind:     hidden_block_count_x
      - .offset:         36
        .size:           4
        .value_kind:     hidden_block_count_y
      - .offset:         40
        .size:           4
        .value_kind:     hidden_block_count_z
      - .offset:         44
        .size:           2
        .value_kind:     hidden_group_size_x
      - .offset:         46
        .size:           2
        .value_kind:     hidden_group_size_y
      - .offset:         48
        .size:           2
        .value_kind:     hidden_group_size_z
      - .offset:         50
        .size:           2
        .value_kind:     hidden_remainder_x
      - .offset:         52
        .size:           2
        .value_kind:     hidden_remainder_y
      - .offset:         54
        .size:           2
        .value_kind:     hidden_remainder_z
      - .offset:         72
        .size:           8
        .value_kind:     hidden_global_offset_x
      - .offset:         80
        .size:           8
        .value_kind:     hidden_global_offset_y
      - .offset:         88
        .size:           8
        .value_kind:     hidden_global_offset_z
      - .offset:         96
        .size:           2
        .value_kind:     hidden_grid_dims
    .group_segment_fixed_size: 0
    .kernarg_segment_align: 8
    .kernarg_segment_size: 288
    .language:       OpenCL C
    .language_version:
      - 2
      - 0
    .max_flat_workgroup_size: 1024
    .name:           _ZN4vllm18convert_fp8_kernelIhtLNS_18Fp8KVCacheDataTypeE1EEEvPKT0_PT_fl
    .private_segment_fixed_size: 0
    .sgpr_count:     22
    .sgpr_spill_count: 0
    .symbol:         _ZN4vllm18convert_fp8_kernelIhtLNS_18Fp8KVCacheDataTypeE1EEEvPKT0_PT_fl.kd
    .uniform_work_group_size: 1
    .uses_dynamic_stack: false
    .vgpr_count:     10
    .vgpr_spill_count: 0
    .wavefront_size: 64
  - .agpr_count:     0
    .args:
      - .actual_access:  read_only
        .address_space:  global
        .offset:         0
        .size:           8
        .value_kind:     global_buffer
      - .actual_access:  write_only
        .address_space:  global
        .offset:         8
        .size:           8
        .value_kind:     global_buffer
      - .offset:         16
        .size:           4
        .value_kind:     by_value
      - .offset:         24
        .size:           8
        .value_kind:     by_value
      - .offset:         32
        .size:           4
        .value_kind:     hidden_block_count_x
      - .offset:         36
        .size:           4
        .value_kind:     hidden_block_count_y
      - .offset:         40
        .size:           4
        .value_kind:     hidden_block_count_z
      - .offset:         44
        .size:           2
        .value_kind:     hidden_group_size_x
      - .offset:         46
        .size:           2
        .value_kind:     hidden_group_size_y
      - .offset:         48
        .size:           2
        .value_kind:     hidden_group_size_z
      - .offset:         50
        .size:           2
        .value_kind:     hidden_remainder_x
      - .offset:         52
        .size:           2
        .value_kind:     hidden_remainder_y
      - .offset:         54
        .size:           2
        .value_kind:     hidden_remainder_z
      - .offset:         72
        .size:           8
        .value_kind:     hidden_global_offset_x
      - .offset:         80
        .size:           8
        .value_kind:     hidden_global_offset_y
      - .offset:         88
        .size:           8
        .value_kind:     hidden_global_offset_z
      - .offset:         96
        .size:           2
        .value_kind:     hidden_grid_dims
    .group_segment_fixed_size: 0
    .kernarg_segment_align: 8
    .kernarg_segment_size: 288
    .language:       OpenCL C
    .language_version:
      - 2
      - 0
    .max_flat_workgroup_size: 1024
    .name:           _ZN4vllm18convert_fp8_kernelIh14__hip_bfloat16LNS_18Fp8KVCacheDataTypeE1EEEvPKT0_PT_fl
    .private_segment_fixed_size: 0
    .sgpr_count:     22
    .sgpr_spill_count: 0
    .symbol:         _ZN4vllm18convert_fp8_kernelIh14__hip_bfloat16LNS_18Fp8KVCacheDataTypeE1EEEvPKT0_PT_fl.kd
    .uniform_work_group_size: 1
    .uses_dynamic_stack: false
    .vgpr_count:     14
    .vgpr_spill_count: 0
    .wavefront_size: 64
  - .agpr_count:     0
    .args:
      - .actual_access:  read_only
        .address_space:  global
        .offset:         0
        .size:           8
        .value_kind:     global_buffer
      - .actual_access:  write_only
        .address_space:  global
        .offset:         8
        .size:           8
        .value_kind:     global_buffer
      - .offset:         16
        .size:           4
        .value_kind:     by_value
      - .offset:         24
        .size:           8
        .value_kind:     by_value
      - .offset:         32
        .size:           4
        .value_kind:     hidden_block_count_x
      - .offset:         36
        .size:           4
        .value_kind:     hidden_block_count_y
      - .offset:         40
        .size:           4
        .value_kind:     hidden_block_count_z
      - .offset:         44
        .size:           2
        .value_kind:     hidden_group_size_x
      - .offset:         46
        .size:           2
        .value_kind:     hidden_group_size_y
      - .offset:         48
        .size:           2
        .value_kind:     hidden_group_size_z
      - .offset:         50
        .size:           2
        .value_kind:     hidden_remainder_x
      - .offset:         52
        .size:           2
        .value_kind:     hidden_remainder_y
      - .offset:         54
        .size:           2
        .value_kind:     hidden_remainder_z
      - .offset:         72
        .size:           8
        .value_kind:     hidden_global_offset_x
      - .offset:         80
        .size:           8
        .value_kind:     hidden_global_offset_y
      - .offset:         88
        .size:           8
        .value_kind:     hidden_global_offset_z
      - .offset:         96
        .size:           2
        .value_kind:     hidden_grid_dims
    .group_segment_fixed_size: 0
    .kernarg_segment_align: 8
    .kernarg_segment_size: 288
    .language:       OpenCL C
    .language_version:
      - 2
      - 0
    .max_flat_workgroup_size: 1024
    .name:           _ZN4vllm18convert_fp8_kernelIfhLNS_18Fp8KVCacheDataTypeE1EEEvPKT0_PT_fl
    .private_segment_fixed_size: 0
    .sgpr_count:     18
    .sgpr_spill_count: 0
    .symbol:         _ZN4vllm18convert_fp8_kernelIfhLNS_18Fp8KVCacheDataTypeE1EEEvPKT0_PT_fl.kd
    .uniform_work_group_size: 1
    .uses_dynamic_stack: false
    .vgpr_count:     7
    .vgpr_spill_count: 0
    .wavefront_size: 64
  - .agpr_count:     0
    .args:
      - .actual_access:  read_only
        .address_space:  global
        .offset:         0
        .size:           8
        .value_kind:     global_buffer
      - .actual_access:  write_only
        .address_space:  global
        .offset:         8
        .size:           8
        .value_kind:     global_buffer
      - .offset:         16
        .size:           4
        .value_kind:     by_value
      - .offset:         24
        .size:           8
        .value_kind:     by_value
      - .offset:         32
        .size:           4
        .value_kind:     hidden_block_count_x
      - .offset:         36
        .size:           4
        .value_kind:     hidden_block_count_y
      - .offset:         40
        .size:           4
        .value_kind:     hidden_block_count_z
      - .offset:         44
        .size:           2
        .value_kind:     hidden_group_size_x
      - .offset:         46
        .size:           2
        .value_kind:     hidden_group_size_y
      - .offset:         48
        .size:           2
        .value_kind:     hidden_group_size_z
      - .offset:         50
        .size:           2
        .value_kind:     hidden_remainder_x
      - .offset:         52
        .size:           2
        .value_kind:     hidden_remainder_y
      - .offset:         54
        .size:           2
        .value_kind:     hidden_remainder_z
      - .offset:         72
        .size:           8
        .value_kind:     hidden_global_offset_x
      - .offset:         80
        .size:           8
        .value_kind:     hidden_global_offset_y
      - .offset:         88
        .size:           8
        .value_kind:     hidden_global_offset_z
      - .offset:         96
        .size:           2
        .value_kind:     hidden_grid_dims
    .group_segment_fixed_size: 0
    .kernarg_segment_align: 8
    .kernarg_segment_size: 288
    .language:       OpenCL C
    .language_version:
      - 2
      - 0
    .max_flat_workgroup_size: 1024
    .name:           _ZN4vllm18convert_fp8_kernelIthLNS_18Fp8KVCacheDataTypeE1EEEvPKT0_PT_fl
    .private_segment_fixed_size: 0
    .sgpr_count:     18
    .sgpr_spill_count: 0
    .symbol:         _ZN4vllm18convert_fp8_kernelIthLNS_18Fp8KVCacheDataTypeE1EEEvPKT0_PT_fl.kd
    .uniform_work_group_size: 1
    .uses_dynamic_stack: false
    .vgpr_count:     7
    .vgpr_spill_count: 0
    .wavefront_size: 64
  - .agpr_count:     0
    .args:
      - .actual_access:  read_only
        .address_space:  global
        .offset:         0
        .size:           8
        .value_kind:     global_buffer
      - .actual_access:  write_only
        .address_space:  global
        .offset:         8
        .size:           8
        .value_kind:     global_buffer
      - .offset:         16
        .size:           4
        .value_kind:     by_value
      - .offset:         24
        .size:           8
        .value_kind:     by_value
      - .offset:         32
        .size:           4
        .value_kind:     hidden_block_count_x
      - .offset:         36
        .size:           4
        .value_kind:     hidden_block_count_y
      - .offset:         40
        .size:           4
        .value_kind:     hidden_block_count_z
      - .offset:         44
        .size:           2
        .value_kind:     hidden_group_size_x
      - .offset:         46
        .size:           2
        .value_kind:     hidden_group_size_y
      - .offset:         48
        .size:           2
        .value_kind:     hidden_group_size_z
      - .offset:         50
        .size:           2
        .value_kind:     hidden_remainder_x
      - .offset:         52
        .size:           2
        .value_kind:     hidden_remainder_y
      - .offset:         54
        .size:           2
        .value_kind:     hidden_remainder_z
      - .offset:         72
        .size:           8
        .value_kind:     hidden_global_offset_x
      - .offset:         80
        .size:           8
        .value_kind:     hidden_global_offset_y
      - .offset:         88
        .size:           8
        .value_kind:     hidden_global_offset_z
      - .offset:         96
        .size:           2
        .value_kind:     hidden_grid_dims
    .group_segment_fixed_size: 0
    .kernarg_segment_align: 8
    .kernarg_segment_size: 288
    .language:       OpenCL C
    .language_version:
      - 2
      - 0
    .max_flat_workgroup_size: 1024
    .name:           _ZN4vllm18convert_fp8_kernelI14__hip_bfloat16hLNS_18Fp8KVCacheDataTypeE1EEEvPKT0_PT_fl
    .private_segment_fixed_size: 0
    .sgpr_count:     22
    .sgpr_spill_count: 0
    .symbol:         _ZN4vllm18convert_fp8_kernelI14__hip_bfloat16hLNS_18Fp8KVCacheDataTypeE1EEEvPKT0_PT_fl.kd
    .uniform_work_group_size: 1
    .uses_dynamic_stack: false
    .vgpr_count:     8
    .vgpr_spill_count: 0
    .wavefront_size: 64
  - .agpr_count:     0
    .args:
      - .actual_access:  read_only
        .address_space:  global
        .offset:         0
        .size:           8
        .value_kind:     global_buffer
      - .actual_access:  write_only
        .address_space:  global
        .offset:         8
        .size:           8
        .value_kind:     global_buffer
      - .actual_access:  read_only
        .address_space:  global
        .offset:         16
        .size:           8
        .value_kind:     global_buffer
      - .actual_access:  read_only
        .address_space:  global
        .offset:         24
        .size:           8
        .value_kind:     global_buffer
      - .actual_access:  read_only
        .address_space:  global
        .offset:         32
        .size:           8
        .value_kind:     global_buffer
      - .offset:         40
        .size:           4
        .value_kind:     by_value
      - .offset:         44
        .size:           4
        .value_kind:     by_value
      - .offset:         48
        .size:           8
        .value_kind:     by_value
      - .offset:         56
        .size:           8
        .value_kind:     by_value
      - .offset:         64
        .size:           8
        .value_kind:     by_value
      - .offset:         72
        .size:           8
        .value_kind:     by_value
      - .actual_access:  read_only
        .address_space:  global
        .offset:         80
        .size:           8
        .value_kind:     global_buffer
      - .actual_access:  read_only
        .address_space:  global
        .offset:         88
        .size:           8
        .value_kind:     global_buffer
      - .offset:         96
        .size:           4
        .value_kind:     hidden_block_count_x
      - .offset:         100
        .size:           4
        .value_kind:     hidden_block_count_y
      - .offset:         104
        .size:           4
        .value_kind:     hidden_block_count_z
      - .offset:         108
        .size:           2
        .value_kind:     hidden_group_size_x
      - .offset:         110
        .size:           2
        .value_kind:     hidden_group_size_y
      - .offset:         112
        .size:           2
        .value_kind:     hidden_group_size_z
      - .offset:         114
        .size:           2
        .value_kind:     hidden_remainder_x
      - .offset:         116
        .size:           2
        .value_kind:     hidden_remainder_y
      - .offset:         118
        .size:           2
        .value_kind:     hidden_remainder_z
      - .offset:         136
        .size:           8
        .value_kind:     hidden_global_offset_x
      - .offset:         144
        .size:           8
        .value_kind:     hidden_global_offset_y
      - .offset:         152
        .size:           8
        .value_kind:     hidden_global_offset_z
      - .offset:         160
        .size:           2
        .value_kind:     hidden_grid_dims
      - .offset:         176
        .size:           8
        .value_kind:     hidden_hostcall_buffer
    .group_segment_fixed_size: 0
    .kernarg_segment_align: 8
    .kernarg_segment_size: 352
    .language:       OpenCL C
    .language_version:
      - 2
      - 0
    .max_flat_workgroup_size: 1024
    .name:           _ZN4vllm30gather_and_maybe_dequant_cacheIffLNS_18Fp8KVCacheDataTypeE0ELi576ELi64EEEvPKT0_PT_PKiS8_S8_iillllPKfS8_
    .private_segment_fixed_size: 64
    .sgpr_count:     46
    .sgpr_spill_count: 0
    .symbol:         _ZN4vllm30gather_and_maybe_dequant_cacheIffLNS_18Fp8KVCacheDataTypeE0ELi576ELi64EEEvPKT0_PT_PKiS8_S8_iillllPKfS8_.kd
    .uniform_work_group_size: 1
    .uses_dynamic_stack: false
    .vgpr_count:     53
    .vgpr_spill_count: 0
    .wavefront_size: 64
  - .agpr_count:     0
    .args:
      - .actual_access:  read_only
        .address_space:  global
        .offset:         0
        .size:           8
        .value_kind:     global_buffer
      - .actual_access:  write_only
        .address_space:  global
        .offset:         8
        .size:           8
        .value_kind:     global_buffer
      - .actual_access:  read_only
        .address_space:  global
        .offset:         16
        .size:           8
        .value_kind:     global_buffer
      - .actual_access:  read_only
        .address_space:  global
        .offset:         24
        .size:           8
        .value_kind:     global_buffer
      - .actual_access:  read_only
        .address_space:  global
        .offset:         32
        .size:           8
        .value_kind:     global_buffer
      - .offset:         40
        .size:           4
        .value_kind:     by_value
      - .offset:         44
        .size:           4
        .value_kind:     by_value
      - .offset:         48
        .size:           8
        .value_kind:     by_value
      - .offset:         56
        .size:           8
        .value_kind:     by_value
      - .offset:         64
        .size:           8
        .value_kind:     by_value
      - .offset:         72
        .size:           8
        .value_kind:     by_value
      - .actual_access:  read_only
        .address_space:  global
        .offset:         80
        .size:           8
        .value_kind:     global_buffer
      - .actual_access:  read_only
        .address_space:  global
        .offset:         88
        .size:           8
        .value_kind:     global_buffer
      - .offset:         96
        .size:           4
        .value_kind:     hidden_block_count_x
      - .offset:         100
        .size:           4
        .value_kind:     hidden_block_count_y
      - .offset:         104
        .size:           4
        .value_kind:     hidden_block_count_z
      - .offset:         108
        .size:           2
        .value_kind:     hidden_group_size_x
      - .offset:         110
        .size:           2
        .value_kind:     hidden_group_size_y
      - .offset:         112
        .size:           2
        .value_kind:     hidden_group_size_z
      - .offset:         114
        .size:           2
        .value_kind:     hidden_remainder_x
      - .offset:         116
        .size:           2
        .value_kind:     hidden_remainder_y
      - .offset:         118
        .size:           2
        .value_kind:     hidden_remainder_z
      - .offset:         136
        .size:           8
        .value_kind:     hidden_global_offset_x
      - .offset:         144
        .size:           8
        .value_kind:     hidden_global_offset_y
      - .offset:         152
        .size:           8
        .value_kind:     hidden_global_offset_z
      - .offset:         160
        .size:           2
        .value_kind:     hidden_grid_dims
      - .offset:         176
        .size:           8
        .value_kind:     hidden_hostcall_buffer
    .group_segment_fixed_size: 0
    .kernarg_segment_align: 8
    .kernarg_segment_size: 352
    .language:       OpenCL C
    .language_version:
      - 2
      - 0
    .max_flat_workgroup_size: 1024
    .name:           _ZN4vllm30gather_and_maybe_dequant_cacheIttLNS_18Fp8KVCacheDataTypeE0ELi576ELi64EEEvPKT0_PT_PKiS8_S8_iillllPKfS8_
    .private_segment_fixed_size: 64
    .sgpr_count:     45
    .sgpr_spill_count: 0
    .symbol:         _ZN4vllm30gather_and_maybe_dequant_cacheIttLNS_18Fp8KVCacheDataTypeE0ELi576ELi64EEEvPKT0_PT_PKiS8_S8_iillllPKfS8_.kd
    .uniform_work_group_size: 1
    .uses_dynamic_stack: false
    .vgpr_count:     53
    .vgpr_spill_count: 0
    .wavefront_size: 64
  - .agpr_count:     0
    .args:
      - .actual_access:  read_only
        .address_space:  global
        .offset:         0
        .size:           8
        .value_kind:     global_buffer
      - .actual_access:  write_only
        .address_space:  global
        .offset:         8
        .size:           8
        .value_kind:     global_buffer
      - .actual_access:  read_only
        .address_space:  global
        .offset:         16
        .size:           8
        .value_kind:     global_buffer
      - .actual_access:  read_only
        .address_space:  global
        .offset:         24
        .size:           8
        .value_kind:     global_buffer
      - .actual_access:  read_only
        .address_space:  global
        .offset:         32
        .size:           8
        .value_kind:     global_buffer
      - .offset:         40
        .size:           4
        .value_kind:     by_value
      - .offset:         44
        .size:           4
        .value_kind:     by_value
      - .offset:         48
        .size:           8
        .value_kind:     by_value
      - .offset:         56
        .size:           8
        .value_kind:     by_value
      - .offset:         64
        .size:           8
        .value_kind:     by_value
      - .offset:         72
        .size:           8
        .value_kind:     by_value
      - .actual_access:  read_only
        .address_space:  global
        .offset:         80
        .size:           8
        .value_kind:     global_buffer
      - .actual_access:  read_only
        .address_space:  global
        .offset:         88
        .size:           8
        .value_kind:     global_buffer
      - .offset:         96
        .size:           4
        .value_kind:     hidden_block_count_x
      - .offset:         100
        .size:           4
        .value_kind:     hidden_block_count_y
      - .offset:         104
        .size:           4
        .value_kind:     hidden_block_count_z
      - .offset:         108
        .size:           2
        .value_kind:     hidden_group_size_x
      - .offset:         110
        .size:           2
        .value_kind:     hidden_group_size_y
      - .offset:         112
        .size:           2
        .value_kind:     hidden_group_size_z
      - .offset:         114
        .size:           2
        .value_kind:     hidden_remainder_x
      - .offset:         116
        .size:           2
        .value_kind:     hidden_remainder_y
      - .offset:         118
        .size:           2
        .value_kind:     hidden_remainder_z
      - .offset:         136
        .size:           8
        .value_kind:     hidden_global_offset_x
      - .offset:         144
        .size:           8
        .value_kind:     hidden_global_offset_y
      - .offset:         152
        .size:           8
        .value_kind:     hidden_global_offset_z
      - .offset:         160
        .size:           2
        .value_kind:     hidden_grid_dims
      - .offset:         176
        .size:           8
        .value_kind:     hidden_hostcall_buffer
    .group_segment_fixed_size: 0
    .kernarg_segment_align: 8
    .kernarg_segment_size: 352
    .language:       OpenCL C
    .language_version:
      - 2
      - 0
    .max_flat_workgroup_size: 1024
    .name:           _ZN4vllm30gather_and_maybe_dequant_cacheI14__hip_bfloat16S1_LNS_18Fp8KVCacheDataTypeE0ELi576ELi64EEEvPKT0_PT_PKiS9_S9_iillllPKfS9_
    .private_segment_fixed_size: 64
    .sgpr_count:     45
    .sgpr_spill_count: 0
    .symbol:         _ZN4vllm30gather_and_maybe_dequant_cacheI14__hip_bfloat16S1_LNS_18Fp8KVCacheDataTypeE0ELi576ELi64EEEvPKT0_PT_PKiS9_S9_iillllPKfS9_.kd
    .uniform_work_group_size: 1
    .uses_dynamic_stack: false
    .vgpr_count:     53
    .vgpr_spill_count: 0
    .wavefront_size: 64
  - .agpr_count:     0
    .args:
      - .actual_access:  read_only
        .address_space:  global
        .offset:         0
        .size:           8
        .value_kind:     global_buffer
      - .actual_access:  write_only
        .address_space:  global
        .offset:         8
        .size:           8
        .value_kind:     global_buffer
      - .actual_access:  read_only
        .address_space:  global
        .offset:         16
        .size:           8
        .value_kind:     global_buffer
      - .actual_access:  read_only
        .address_space:  global
        .offset:         24
        .size:           8
        .value_kind:     global_buffer
      - .actual_access:  read_only
        .address_space:  global
        .offset:         32
        .size:           8
        .value_kind:     global_buffer
      - .offset:         40
        .size:           4
        .value_kind:     by_value
      - .offset:         44
        .size:           4
        .value_kind:     by_value
      - .offset:         48
        .size:           8
        .value_kind:     by_value
      - .offset:         56
        .size:           8
        .value_kind:     by_value
      - .offset:         64
        .size:           8
        .value_kind:     by_value
      - .offset:         72
        .size:           8
        .value_kind:     by_value
      - .actual_access:  read_only
        .address_space:  global
        .offset:         80
        .size:           8
        .value_kind:     global_buffer
      - .actual_access:  read_only
        .address_space:  global
        .offset:         88
        .size:           8
        .value_kind:     global_buffer
      - .offset:         96
        .size:           4
        .value_kind:     hidden_block_count_x
      - .offset:         100
        .size:           4
        .value_kind:     hidden_block_count_y
      - .offset:         104
        .size:           4
        .value_kind:     hidden_block_count_z
      - .offset:         108
        .size:           2
        .value_kind:     hidden_group_size_x
      - .offset:         110
        .size:           2
        .value_kind:     hidden_group_size_y
      - .offset:         112
        .size:           2
        .value_kind:     hidden_group_size_z
      - .offset:         114
        .size:           2
        .value_kind:     hidden_remainder_x
      - .offset:         116
        .size:           2
        .value_kind:     hidden_remainder_y
      - .offset:         118
        .size:           2
        .value_kind:     hidden_remainder_z
      - .offset:         136
        .size:           8
        .value_kind:     hidden_global_offset_x
      - .offset:         144
        .size:           8
        .value_kind:     hidden_global_offset_y
      - .offset:         152
        .size:           8
        .value_kind:     hidden_global_offset_z
      - .offset:         160
        .size:           2
        .value_kind:     hidden_grid_dims
      - .offset:         176
        .size:           8
        .value_kind:     hidden_hostcall_buffer
    .group_segment_fixed_size: 0
    .kernarg_segment_align: 8
    .kernarg_segment_size: 352
    .language:       OpenCL C
    .language_version:
      - 2
      - 0
    .max_flat_workgroup_size: 1024
    .name:           _ZN4vllm30gather_and_maybe_dequant_cacheIfhLNS_18Fp8KVCacheDataTypeE1ELi576ELi64EEEvPKT0_PT_PKiS8_S8_iillllPKfS8_
    .private_segment_fixed_size: 64
    .sgpr_count:     51
    .sgpr_spill_count: 0
    .symbol:         _ZN4vllm30gather_and_maybe_dequant_cacheIfhLNS_18Fp8KVCacheDataTypeE1ELi576ELi64EEEvPKT0_PT_PKiS8_S8_iillllPKfS8_.kd
    .uniform_work_group_size: 1
    .uses_dynamic_stack: false
    .vgpr_count:     53
    .vgpr_spill_count: 0
    .wavefront_size: 64
  - .agpr_count:     0
    .args:
      - .actual_access:  read_only
        .address_space:  global
        .offset:         0
        .size:           8
        .value_kind:     global_buffer
      - .actual_access:  write_only
        .address_space:  global
        .offset:         8
        .size:           8
        .value_kind:     global_buffer
      - .actual_access:  read_only
        .address_space:  global
        .offset:         16
        .size:           8
        .value_kind:     global_buffer
      - .actual_access:  read_only
        .address_space:  global
        .offset:         24
        .size:           8
        .value_kind:     global_buffer
      - .actual_access:  read_only
        .address_space:  global
        .offset:         32
        .size:           8
        .value_kind:     global_buffer
      - .offset:         40
        .size:           4
        .value_kind:     by_value
      - .offset:         44
        .size:           4
        .value_kind:     by_value
      - .offset:         48
        .size:           8
        .value_kind:     by_value
      - .offset:         56
        .size:           8
        .value_kind:     by_value
      - .offset:         64
        .size:           8
        .value_kind:     by_value
      - .offset:         72
        .size:           8
        .value_kind:     by_value
      - .actual_access:  read_only
        .address_space:  global
        .offset:         80
        .size:           8
        .value_kind:     global_buffer
      - .actual_access:  read_only
        .address_space:  global
        .offset:         88
        .size:           8
        .value_kind:     global_buffer
      - .offset:         96
        .size:           4
        .value_kind:     hidden_block_count_x
      - .offset:         100
        .size:           4
        .value_kind:     hidden_block_count_y
      - .offset:         104
        .size:           4
        .value_kind:     hidden_block_count_z
      - .offset:         108
        .size:           2
        .value_kind:     hidden_group_size_x
      - .offset:         110
        .size:           2
        .value_kind:     hidden_group_size_y
      - .offset:         112
        .size:           2
        .value_kind:     hidden_group_size_z
      - .offset:         114
        .size:           2
        .value_kind:     hidden_remainder_x
      - .offset:         116
        .size:           2
        .value_kind:     hidden_remainder_y
      - .offset:         118
        .size:           2
        .value_kind:     hidden_remainder_z
      - .offset:         136
        .size:           8
        .value_kind:     hidden_global_offset_x
      - .offset:         144
        .size:           8
        .value_kind:     hidden_global_offset_y
      - .offset:         152
        .size:           8
        .value_kind:     hidden_global_offset_z
      - .offset:         160
        .size:           2
        .value_kind:     hidden_grid_dims
      - .offset:         176
        .size:           8
        .value_kind:     hidden_hostcall_buffer
    .group_segment_fixed_size: 0
    .kernarg_segment_align: 8
    .kernarg_segment_size: 352
    .language:       OpenCL C
    .language_version:
      - 2
      - 0
    .max_flat_workgroup_size: 1024
    .name:           _ZN4vllm30gather_and_maybe_dequant_cacheIthLNS_18Fp8KVCacheDataTypeE1ELi576ELi64EEEvPKT0_PT_PKiS8_S8_iillllPKfS8_
    .private_segment_fixed_size: 64
    .sgpr_count:     49
    .sgpr_spill_count: 0
    .symbol:         _ZN4vllm30gather_and_maybe_dequant_cacheIthLNS_18Fp8KVCacheDataTypeE1ELi576ELi64EEEvPKT0_PT_PKiS8_S8_iillllPKfS8_.kd
    .uniform_work_group_size: 1
    .uses_dynamic_stack: false
    .vgpr_count:     53
    .vgpr_spill_count: 0
    .wavefront_size: 64
  - .agpr_count:     0
    .args:
      - .actual_access:  read_only
        .address_space:  global
        .offset:         0
        .size:           8
        .value_kind:     global_buffer
      - .actual_access:  write_only
        .address_space:  global
        .offset:         8
        .size:           8
        .value_kind:     global_buffer
      - .actual_access:  read_only
        .address_space:  global
        .offset:         16
        .size:           8
        .value_kind:     global_buffer
      - .actual_access:  read_only
        .address_space:  global
        .offset:         24
        .size:           8
        .value_kind:     global_buffer
      - .actual_access:  read_only
        .address_space:  global
        .offset:         32
        .size:           8
        .value_kind:     global_buffer
      - .offset:         40
        .size:           4
        .value_kind:     by_value
      - .offset:         44
        .size:           4
        .value_kind:     by_value
      - .offset:         48
        .size:           8
        .value_kind:     by_value
      - .offset:         56
        .size:           8
        .value_kind:     by_value
      - .offset:         64
        .size:           8
        .value_kind:     by_value
      - .offset:         72
        .size:           8
        .value_kind:     by_value
      - .actual_access:  read_only
        .address_space:  global
        .offset:         80
        .size:           8
        .value_kind:     global_buffer
      - .actual_access:  read_only
        .address_space:  global
        .offset:         88
        .size:           8
        .value_kind:     global_buffer
      - .offset:         96
        .size:           4
        .value_kind:     hidden_block_count_x
      - .offset:         100
        .size:           4
        .value_kind:     hidden_block_count_y
      - .offset:         104
        .size:           4
        .value_kind:     hidden_block_count_z
      - .offset:         108
        .size:           2
        .value_kind:     hidden_group_size_x
      - .offset:         110
        .size:           2
        .value_kind:     hidden_group_size_y
      - .offset:         112
        .size:           2
        .value_kind:     hidden_group_size_z
      - .offset:         114
        .size:           2
        .value_kind:     hidden_remainder_x
      - .offset:         116
        .size:           2
        .value_kind:     hidden_remainder_y
      - .offset:         118
        .size:           2
        .value_kind:     hidden_remainder_z
      - .offset:         136
        .size:           8
        .value_kind:     hidden_global_offset_x
      - .offset:         144
        .size:           8
        .value_kind:     hidden_global_offset_y
      - .offset:         152
        .size:           8
        .value_kind:     hidden_global_offset_z
      - .offset:         160
        .size:           2
        .value_kind:     hidden_grid_dims
      - .offset:         176
        .size:           8
        .value_kind:     hidden_hostcall_buffer
    .group_segment_fixed_size: 0
    .kernarg_segment_align: 8
    .kernarg_segment_size: 352
    .language:       OpenCL C
    .language_version:
      - 2
      - 0
    .max_flat_workgroup_size: 1024
    .name:           _ZN4vllm30gather_and_maybe_dequant_cacheI14__hip_bfloat16hLNS_18Fp8KVCacheDataTypeE1ELi576ELi64EEEvPKT0_PT_PKiS9_S9_iillllPKfS9_
    .private_segment_fixed_size: 64
    .sgpr_count:     52
    .sgpr_spill_count: 0
    .symbol:         _ZN4vllm30gather_and_maybe_dequant_cacheI14__hip_bfloat16hLNS_18Fp8KVCacheDataTypeE1ELi576ELi64EEEvPKT0_PT_PKiS9_S9_iillllPKfS9_.kd
    .uniform_work_group_size: 1
    .uses_dynamic_stack: false
    .vgpr_count:     53
    .vgpr_spill_count: 0
    .wavefront_size: 64
  - .agpr_count:     0
    .args:
      - .actual_access:  read_only
        .address_space:  global
        .offset:         0
        .size:           8
        .value_kind:     global_buffer
      - .actual_access:  write_only
        .address_space:  global
        .offset:         8
        .size:           8
        .value_kind:     global_buffer
      - .actual_access:  read_only
        .address_space:  global
        .offset:         16
        .size:           8
        .value_kind:     global_buffer
      - .actual_access:  read_only
        .address_space:  global
        .offset:         24
        .size:           8
        .value_kind:     global_buffer
      - .actual_access:  read_only
        .address_space:  global
        .offset:         32
        .size:           8
        .value_kind:     global_buffer
      - .offset:         40
        .size:           4
        .value_kind:     by_value
      - .offset:         44
        .size:           4
        .value_kind:     by_value
      - .offset:         48
        .size:           8
        .value_kind:     by_value
      - .offset:         56
        .size:           8
        .value_kind:     by_value
      - .offset:         64
        .size:           8
        .value_kind:     by_value
      - .offset:         72
        .size:           8
        .value_kind:     by_value
      - .actual_access:  read_only
        .address_space:  global
        .offset:         80
        .size:           8
        .value_kind:     global_buffer
      - .actual_access:  read_only
        .address_space:  global
        .offset:         88
        .size:           8
        .value_kind:     global_buffer
      - .offset:         96
        .size:           4
        .value_kind:     hidden_block_count_x
      - .offset:         100
        .size:           4
        .value_kind:     hidden_block_count_y
      - .offset:         104
        .size:           4
        .value_kind:     hidden_block_count_z
      - .offset:         108
        .size:           2
        .value_kind:     hidden_group_size_x
      - .offset:         110
        .size:           2
        .value_kind:     hidden_group_size_y
      - .offset:         112
        .size:           2
        .value_kind:     hidden_group_size_z
      - .offset:         114
        .size:           2
        .value_kind:     hidden_remainder_x
      - .offset:         116
        .size:           2
        .value_kind:     hidden_remainder_y
      - .offset:         118
        .size:           2
        .value_kind:     hidden_remainder_z
      - .offset:         136
        .size:           8
        .value_kind:     hidden_global_offset_x
      - .offset:         144
        .size:           8
        .value_kind:     hidden_global_offset_y
      - .offset:         152
        .size:           8
        .value_kind:     hidden_global_offset_z
      - .offset:         160
        .size:           2
        .value_kind:     hidden_grid_dims
      - .offset:         176
        .size:           8
        .value_kind:     hidden_hostcall_buffer
    .group_segment_fixed_size: 0
    .kernarg_segment_align: 8
    .kernarg_segment_size: 352
    .language:       OpenCL C
    .language_version:
      - 2
      - 0
    .max_flat_workgroup_size: 1024
    .name:           _ZN4vllm30gather_and_maybe_dequant_cacheIffLNS_18Fp8KVCacheDataTypeE0ELi320ELi64EEEvPKT0_PT_PKiS8_S8_iillllPKfS8_
    .private_segment_fixed_size: 64
    .sgpr_count:     45
    .sgpr_spill_count: 0
    .symbol:         _ZN4vllm30gather_and_maybe_dequant_cacheIffLNS_18Fp8KVCacheDataTypeE0ELi320ELi64EEEvPKT0_PT_PKiS8_S8_iillllPKfS8_.kd
    .uniform_work_group_size: 1
    .uses_dynamic_stack: false
    .vgpr_count:     53
    .vgpr_spill_count: 0
    .wavefront_size: 64
  - .agpr_count:     0
    .args:
      - .actual_access:  read_only
        .address_space:  global
        .offset:         0
        .size:           8
        .value_kind:     global_buffer
      - .actual_access:  write_only
        .address_space:  global
        .offset:         8
        .size:           8
        .value_kind:     global_buffer
      - .actual_access:  read_only
        .address_space:  global
        .offset:         16
        .size:           8
        .value_kind:     global_buffer
      - .actual_access:  read_only
        .address_space:  global
        .offset:         24
        .size:           8
        .value_kind:     global_buffer
      - .actual_access:  read_only
        .address_space:  global
        .offset:         32
        .size:           8
        .value_kind:     global_buffer
      - .offset:         40
        .size:           4
        .value_kind:     by_value
      - .offset:         44
        .size:           4
        .value_kind:     by_value
      - .offset:         48
        .size:           8
        .value_kind:     by_value
      - .offset:         56
        .size:           8
        .value_kind:     by_value
      - .offset:         64
        .size:           8
        .value_kind:     by_value
      - .offset:         72
        .size:           8
        .value_kind:     by_value
      - .actual_access:  read_only
        .address_space:  global
        .offset:         80
        .size:           8
        .value_kind:     global_buffer
      - .actual_access:  read_only
        .address_space:  global
        .offset:         88
        .size:           8
        .value_kind:     global_buffer
      - .offset:         96
        .size:           4
        .value_kind:     hidden_block_count_x
      - .offset:         100
        .size:           4
        .value_kind:     hidden_block_count_y
      - .offset:         104
        .size:           4
        .value_kind:     hidden_block_count_z
      - .offset:         108
        .size:           2
        .value_kind:     hidden_group_size_x
      - .offset:         110
        .size:           2
        .value_kind:     hidden_group_size_y
      - .offset:         112
        .size:           2
        .value_kind:     hidden_group_size_z
      - .offset:         114
        .size:           2
        .value_kind:     hidden_remainder_x
      - .offset:         116
        .size:           2
        .value_kind:     hidden_remainder_y
      - .offset:         118
        .size:           2
        .value_kind:     hidden_remainder_z
      - .offset:         136
        .size:           8
        .value_kind:     hidden_global_offset_x
      - .offset:         144
        .size:           8
        .value_kind:     hidden_global_offset_y
      - .offset:         152
        .size:           8
        .value_kind:     hidden_global_offset_z
      - .offset:         160
        .size:           2
        .value_kind:     hidden_grid_dims
      - .offset:         176
        .size:           8
        .value_kind:     hidden_hostcall_buffer
    .group_segment_fixed_size: 0
    .kernarg_segment_align: 8
    .kernarg_segment_size: 352
    .language:       OpenCL C
    .language_version:
      - 2
      - 0
    .max_flat_workgroup_size: 1024
    .name:           _ZN4vllm30gather_and_maybe_dequant_cacheIttLNS_18Fp8KVCacheDataTypeE0ELi320ELi64EEEvPKT0_PT_PKiS8_S8_iillllPKfS8_
    .private_segment_fixed_size: 64
    .sgpr_count:     45
    .sgpr_spill_count: 0
    .symbol:         _ZN4vllm30gather_and_maybe_dequant_cacheIttLNS_18Fp8KVCacheDataTypeE0ELi320ELi64EEEvPKT0_PT_PKiS8_S8_iillllPKfS8_.kd
    .uniform_work_group_size: 1
    .uses_dynamic_stack: false
    .vgpr_count:     53
    .vgpr_spill_count: 0
    .wavefront_size: 64
  - .agpr_count:     0
    .args:
      - .actual_access:  read_only
        .address_space:  global
        .offset:         0
        .size:           8
        .value_kind:     global_buffer
      - .actual_access:  write_only
        .address_space:  global
        .offset:         8
        .size:           8
        .value_kind:     global_buffer
      - .actual_access:  read_only
        .address_space:  global
        .offset:         16
        .size:           8
        .value_kind:     global_buffer
      - .actual_access:  read_only
        .address_space:  global
        .offset:         24
        .size:           8
        .value_kind:     global_buffer
      - .actual_access:  read_only
        .address_space:  global
        .offset:         32
        .size:           8
        .value_kind:     global_buffer
      - .offset:         40
        .size:           4
        .value_kind:     by_value
      - .offset:         44
        .size:           4
        .value_kind:     by_value
      - .offset:         48
        .size:           8
        .value_kind:     by_value
      - .offset:         56
        .size:           8
        .value_kind:     by_value
      - .offset:         64
        .size:           8
        .value_kind:     by_value
      - .offset:         72
        .size:           8
        .value_kind:     by_value
      - .actual_access:  read_only
        .address_space:  global
        .offset:         80
        .size:           8
        .value_kind:     global_buffer
      - .actual_access:  read_only
        .address_space:  global
        .offset:         88
        .size:           8
        .value_kind:     global_buffer
      - .offset:         96
        .size:           4
        .value_kind:     hidden_block_count_x
      - .offset:         100
        .size:           4
        .value_kind:     hidden_block_count_y
      - .offset:         104
        .size:           4
        .value_kind:     hidden_block_count_z
      - .offset:         108
        .size:           2
        .value_kind:     hidden_group_size_x
      - .offset:         110
        .size:           2
        .value_kind:     hidden_group_size_y
      - .offset:         112
        .size:           2
        .value_kind:     hidden_group_size_z
      - .offset:         114
        .size:           2
        .value_kind:     hidden_remainder_x
      - .offset:         116
        .size:           2
        .value_kind:     hidden_remainder_y
      - .offset:         118
        .size:           2
        .value_kind:     hidden_remainder_z
      - .offset:         136
        .size:           8
        .value_kind:     hidden_global_offset_x
      - .offset:         144
        .size:           8
        .value_kind:     hidden_global_offset_y
      - .offset:         152
        .size:           8
        .value_kind:     hidden_global_offset_z
      - .offset:         160
        .size:           2
        .value_kind:     hidden_grid_dims
      - .offset:         176
        .size:           8
        .value_kind:     hidden_hostcall_buffer
    .group_segment_fixed_size: 0
    .kernarg_segment_align: 8
    .kernarg_segment_size: 352
    .language:       OpenCL C
    .language_version:
      - 2
      - 0
    .max_flat_workgroup_size: 1024
    .name:           _ZN4vllm30gather_and_maybe_dequant_cacheI14__hip_bfloat16S1_LNS_18Fp8KVCacheDataTypeE0ELi320ELi64EEEvPKT0_PT_PKiS9_S9_iillllPKfS9_
    .private_segment_fixed_size: 64
    .sgpr_count:     45
    .sgpr_spill_count: 0
    .symbol:         _ZN4vllm30gather_and_maybe_dequant_cacheI14__hip_bfloat16S1_LNS_18Fp8KVCacheDataTypeE0ELi320ELi64EEEvPKT0_PT_PKiS9_S9_iillllPKfS9_.kd
    .uniform_work_group_size: 1
    .uses_dynamic_stack: false
    .vgpr_count:     53
    .vgpr_spill_count: 0
    .wavefront_size: 64
  - .agpr_count:     0
    .args:
      - .actual_access:  read_only
        .address_space:  global
        .offset:         0
        .size:           8
        .value_kind:     global_buffer
      - .actual_access:  write_only
        .address_space:  global
        .offset:         8
        .size:           8
        .value_kind:     global_buffer
      - .actual_access:  read_only
        .address_space:  global
        .offset:         16
        .size:           8
        .value_kind:     global_buffer
      - .actual_access:  read_only
        .address_space:  global
        .offset:         24
        .size:           8
        .value_kind:     global_buffer
      - .actual_access:  read_only
        .address_space:  global
        .offset:         32
        .size:           8
        .value_kind:     global_buffer
      - .offset:         40
        .size:           4
        .value_kind:     by_value
      - .offset:         44
        .size:           4
        .value_kind:     by_value
      - .offset:         48
        .size:           8
        .value_kind:     by_value
      - .offset:         56
        .size:           8
        .value_kind:     by_value
      - .offset:         64
        .size:           8
        .value_kind:     by_value
      - .offset:         72
        .size:           8
        .value_kind:     by_value
      - .actual_access:  read_only
        .address_space:  global
        .offset:         80
        .size:           8
        .value_kind:     global_buffer
      - .actual_access:  read_only
        .address_space:  global
        .offset:         88
        .size:           8
        .value_kind:     global_buffer
      - .offset:         96
        .size:           4
        .value_kind:     hidden_block_count_x
      - .offset:         100
        .size:           4
        .value_kind:     hidden_block_count_y
      - .offset:         104
        .size:           4
        .value_kind:     hidden_block_count_z
      - .offset:         108
        .size:           2
        .value_kind:     hidden_group_size_x
      - .offset:         110
        .size:           2
        .value_kind:     hidden_group_size_y
      - .offset:         112
        .size:           2
        .value_kind:     hidden_group_size_z
      - .offset:         114
        .size:           2
        .value_kind:     hidden_remainder_x
      - .offset:         116
        .size:           2
        .value_kind:     hidden_remainder_y
      - .offset:         118
        .size:           2
        .value_kind:     hidden_remainder_z
      - .offset:         136
        .size:           8
        .value_kind:     hidden_global_offset_x
      - .offset:         144
        .size:           8
        .value_kind:     hidden_global_offset_y
      - .offset:         152
        .size:           8
        .value_kind:     hidden_global_offset_z
      - .offset:         160
        .size:           2
        .value_kind:     hidden_grid_dims
      - .offset:         176
        .size:           8
        .value_kind:     hidden_hostcall_buffer
    .group_segment_fixed_size: 0
    .kernarg_segment_align: 8
    .kernarg_segment_size: 352
    .language:       OpenCL C
    .language_version:
      - 2
      - 0
    .max_flat_workgroup_size: 1024
    .name:           _ZN4vllm30gather_and_maybe_dequant_cacheIfhLNS_18Fp8KVCacheDataTypeE1ELi320ELi64EEEvPKT0_PT_PKiS8_S8_iillllPKfS8_
    .private_segment_fixed_size: 64
    .sgpr_count:     50
    .sgpr_spill_count: 0
    .symbol:         _ZN4vllm30gather_and_maybe_dequant_cacheIfhLNS_18Fp8KVCacheDataTypeE1ELi320ELi64EEEvPKT0_PT_PKiS8_S8_iillllPKfS8_.kd
    .uniform_work_group_size: 1
    .uses_dynamic_stack: false
    .vgpr_count:     53
    .vgpr_spill_count: 0
    .wavefront_size: 64
  - .agpr_count:     0
    .args:
      - .actual_access:  read_only
        .address_space:  global
        .offset:         0
        .size:           8
        .value_kind:     global_buffer
      - .actual_access:  write_only
        .address_space:  global
        .offset:         8
        .size:           8
        .value_kind:     global_buffer
      - .actual_access:  read_only
        .address_space:  global
        .offset:         16
        .size:           8
        .value_kind:     global_buffer
      - .actual_access:  read_only
        .address_space:  global
        .offset:         24
        .size:           8
        .value_kind:     global_buffer
      - .actual_access:  read_only
        .address_space:  global
        .offset:         32
        .size:           8
        .value_kind:     global_buffer
      - .offset:         40
        .size:           4
        .value_kind:     by_value
      - .offset:         44
        .size:           4
        .value_kind:     by_value
      - .offset:         48
        .size:           8
        .value_kind:     by_value
      - .offset:         56
        .size:           8
        .value_kind:     by_value
      - .offset:         64
        .size:           8
        .value_kind:     by_value
      - .offset:         72
        .size:           8
        .value_kind:     by_value
      - .actual_access:  read_only
        .address_space:  global
        .offset:         80
        .size:           8
        .value_kind:     global_buffer
      - .actual_access:  read_only
        .address_space:  global
        .offset:         88
        .size:           8
        .value_kind:     global_buffer
      - .offset:         96
        .size:           4
        .value_kind:     hidden_block_count_x
      - .offset:         100
        .size:           4
        .value_kind:     hidden_block_count_y
      - .offset:         104
        .size:           4
        .value_kind:     hidden_block_count_z
      - .offset:         108
        .size:           2
        .value_kind:     hidden_group_size_x
      - .offset:         110
        .size:           2
        .value_kind:     hidden_group_size_y
      - .offset:         112
        .size:           2
        .value_kind:     hidden_group_size_z
      - .offset:         114
        .size:           2
        .value_kind:     hidden_remainder_x
      - .offset:         116
        .size:           2
        .value_kind:     hidden_remainder_y
      - .offset:         118
        .size:           2
        .value_kind:     hidden_remainder_z
      - .offset:         136
        .size:           8
        .value_kind:     hidden_global_offset_x
      - .offset:         144
        .size:           8
        .value_kind:     hidden_global_offset_y
      - .offset:         152
        .size:           8
        .value_kind:     hidden_global_offset_z
      - .offset:         160
        .size:           2
        .value_kind:     hidden_grid_dims
      - .offset:         176
        .size:           8
        .value_kind:     hidden_hostcall_buffer
    .group_segment_fixed_size: 0
    .kernarg_segment_align: 8
    .kernarg_segment_size: 352
    .language:       OpenCL C
    .language_version:
      - 2
      - 0
    .max_flat_workgroup_size: 1024
    .name:           _ZN4vllm30gather_and_maybe_dequant_cacheIthLNS_18Fp8KVCacheDataTypeE1ELi320ELi64EEEvPKT0_PT_PKiS8_S8_iillllPKfS8_
    .private_segment_fixed_size: 64
    .sgpr_count:     47
    .sgpr_spill_count: 0
    .symbol:         _ZN4vllm30gather_and_maybe_dequant_cacheIthLNS_18Fp8KVCacheDataTypeE1ELi320ELi64EEEvPKT0_PT_PKiS8_S8_iillllPKfS8_.kd
    .uniform_work_group_size: 1
    .uses_dynamic_stack: false
    .vgpr_count:     53
    .vgpr_spill_count: 0
    .wavefront_size: 64
  - .agpr_count:     0
    .args:
      - .actual_access:  read_only
        .address_space:  global
        .offset:         0
        .size:           8
        .value_kind:     global_buffer
      - .actual_access:  write_only
        .address_space:  global
        .offset:         8
        .size:           8
        .value_kind:     global_buffer
      - .actual_access:  read_only
        .address_space:  global
        .offset:         16
        .size:           8
        .value_kind:     global_buffer
      - .actual_access:  read_only
        .address_space:  global
        .offset:         24
        .size:           8
        .value_kind:     global_buffer
      - .actual_access:  read_only
        .address_space:  global
        .offset:         32
        .size:           8
        .value_kind:     global_buffer
      - .offset:         40
        .size:           4
        .value_kind:     by_value
      - .offset:         44
        .size:           4
        .value_kind:     by_value
      - .offset:         48
        .size:           8
        .value_kind:     by_value
      - .offset:         56
        .size:           8
        .value_kind:     by_value
      - .offset:         64
        .size:           8
        .value_kind:     by_value
      - .offset:         72
        .size:           8
        .value_kind:     by_value
      - .actual_access:  read_only
        .address_space:  global
        .offset:         80
        .size:           8
        .value_kind:     global_buffer
      - .actual_access:  read_only
        .address_space:  global
        .offset:         88
        .size:           8
        .value_kind:     global_buffer
      - .offset:         96
        .size:           4
        .value_kind:     hidden_block_count_x
      - .offset:         100
        .size:           4
        .value_kind:     hidden_block_count_y
      - .offset:         104
        .size:           4
        .value_kind:     hidden_block_count_z
      - .offset:         108
        .size:           2
        .value_kind:     hidden_group_size_x
      - .offset:         110
        .size:           2
        .value_kind:     hidden_group_size_y
      - .offset:         112
        .size:           2
        .value_kind:     hidden_group_size_z
      - .offset:         114
        .size:           2
        .value_kind:     hidden_remainder_x
      - .offset:         116
        .size:           2
        .value_kind:     hidden_remainder_y
      - .offset:         118
        .size:           2
        .value_kind:     hidden_remainder_z
      - .offset:         136
        .size:           8
        .value_kind:     hidden_global_offset_x
      - .offset:         144
        .size:           8
        .value_kind:     hidden_global_offset_y
      - .offset:         152
        .size:           8
        .value_kind:     hidden_global_offset_z
      - .offset:         160
        .size:           2
        .value_kind:     hidden_grid_dims
      - .offset:         176
        .size:           8
        .value_kind:     hidden_hostcall_buffer
    .group_segment_fixed_size: 0
    .kernarg_segment_align: 8
    .kernarg_segment_size: 352
    .language:       OpenCL C
    .language_version:
      - 2
      - 0
    .max_flat_workgroup_size: 1024
    .name:           _ZN4vllm30gather_and_maybe_dequant_cacheI14__hip_bfloat16hLNS_18Fp8KVCacheDataTypeE1ELi320ELi64EEEvPKT0_PT_PKiS9_S9_iillllPKfS9_
    .private_segment_fixed_size: 64
    .sgpr_count:     50
    .sgpr_spill_count: 0
    .symbol:         _ZN4vllm30gather_and_maybe_dequant_cacheI14__hip_bfloat16hLNS_18Fp8KVCacheDataTypeE1ELi320ELi64EEEvPKT0_PT_PKiS9_S9_iillllPKfS9_.kd
    .uniform_work_group_size: 1
    .uses_dynamic_stack: false
    .vgpr_count:     53
    .vgpr_spill_count: 0
    .wavefront_size: 64
  - .agpr_count:     0
    .args:
      - .actual_access:  read_only
        .address_space:  global
        .offset:         0
        .size:           8
        .value_kind:     global_buffer
      - .actual_access:  write_only
        .address_space:  global
        .offset:         8
        .size:           8
        .value_kind:     global_buffer
      - .actual_access:  read_only
        .address_space:  global
        .offset:         16
        .size:           8
        .value_kind:     global_buffer
      - .actual_access:  read_only
        .address_space:  global
        .offset:         24
        .size:           8
        .value_kind:     global_buffer
      - .offset:         32
        .size:           4
        .value_kind:     by_value
      - .offset:         36
        .size:           4
        .value_kind:     by_value
      - .offset:         40
        .size:           8
        .value_kind:     by_value
      - .offset:         48
        .size:           8
        .value_kind:     by_value
      - .offset:         56
        .size:           8
        .value_kind:     by_value
      - .offset:         64
        .size:           8
        .value_kind:     by_value
      - .actual_access:  read_only
        .address_space:  global
        .offset:         72
        .size:           8
        .value_kind:     global_buffer
      - .offset:         80
        .size:           4
        .value_kind:     hidden_block_count_x
      - .offset:         84
        .size:           4
        .value_kind:     hidden_block_count_y
      - .offset:         88
        .size:           4
        .value_kind:     hidden_block_count_z
      - .offset:         92
        .size:           2
        .value_kind:     hidden_group_size_x
      - .offset:         94
        .size:           2
        .value_kind:     hidden_group_size_y
      - .offset:         96
        .size:           2
        .value_kind:     hidden_group_size_z
      - .offset:         98
        .size:           2
        .value_kind:     hidden_remainder_x
      - .offset:         100
        .size:           2
        .value_kind:     hidden_remainder_y
      - .offset:         102
        .size:           2
        .value_kind:     hidden_remainder_z
      - .offset:         120
        .size:           8
        .value_kind:     hidden_global_offset_x
      - .offset:         128
        .size:           8
        .value_kind:     hidden_global_offset_y
      - .offset:         136
        .size:           8
        .value_kind:     hidden_global_offset_z
      - .offset:         144
        .size:           2
        .value_kind:     hidden_grid_dims
    .group_segment_fixed_size: 0
    .kernarg_segment_align: 8
    .kernarg_segment_size: 336
    .language:       OpenCL C
    .language_version:
      - 2
      - 0
    .max_flat_workgroup_size: 1024
    .name:           _ZN4vllm15cp_gather_cacheIjEEvPKT_PS1_PKiS6_iillllS6_
    .private_segment_fixed_size: 0
    .sgpr_count:     37
    .sgpr_spill_count: 0
    .symbol:         _ZN4vllm15cp_gather_cacheIjEEvPKT_PS1_PKiS6_iillllS6_.kd
    .uniform_work_group_size: 1
    .uses_dynamic_stack: false
    .vgpr_count:     8
    .vgpr_spill_count: 0
    .wavefront_size: 64
  - .agpr_count:     0
    .args:
      - .actual_access:  read_only
        .address_space:  global
        .offset:         0
        .size:           8
        .value_kind:     global_buffer
      - .actual_access:  write_only
        .address_space:  global
        .offset:         8
        .size:           8
        .value_kind:     global_buffer
      - .actual_access:  read_only
        .address_space:  global
        .offset:         16
        .size:           8
        .value_kind:     global_buffer
      - .actual_access:  read_only
        .address_space:  global
        .offset:         24
        .size:           8
        .value_kind:     global_buffer
      - .offset:         32
        .size:           4
        .value_kind:     by_value
      - .offset:         36
        .size:           4
        .value_kind:     by_value
      - .offset:         40
        .size:           8
        .value_kind:     by_value
      - .offset:         48
        .size:           8
        .value_kind:     by_value
      - .offset:         56
        .size:           8
        .value_kind:     by_value
      - .offset:         64
        .size:           8
        .value_kind:     by_value
      - .actual_access:  read_only
        .address_space:  global
        .offset:         72
        .size:           8
        .value_kind:     global_buffer
      - .offset:         80
        .size:           4
        .value_kind:     hidden_block_count_x
      - .offset:         84
        .size:           4
        .value_kind:     hidden_block_count_y
      - .offset:         88
        .size:           4
        .value_kind:     hidden_block_count_z
      - .offset:         92
        .size:           2
        .value_kind:     hidden_group_size_x
      - .offset:         94
        .size:           2
        .value_kind:     hidden_group_size_y
      - .offset:         96
        .size:           2
        .value_kind:     hidden_group_size_z
      - .offset:         98
        .size:           2
        .value_kind:     hidden_remainder_x
      - .offset:         100
        .size:           2
        .value_kind:     hidden_remainder_y
      - .offset:         102
        .size:           2
        .value_kind:     hidden_remainder_z
      - .offset:         120
        .size:           8
        .value_kind:     hidden_global_offset_x
      - .offset:         128
        .size:           8
        .value_kind:     hidden_global_offset_y
      - .offset:         136
        .size:           8
        .value_kind:     hidden_global_offset_z
      - .offset:         144
        .size:           2
        .value_kind:     hidden_grid_dims
    .group_segment_fixed_size: 0
    .kernarg_segment_align: 8
    .kernarg_segment_size: 336
    .language:       OpenCL C
    .language_version:
      - 2
      - 0
    .max_flat_workgroup_size: 1024
    .name:           _ZN4vllm15cp_gather_cacheItEEvPKT_PS1_PKiS6_iillllS6_
    .private_segment_fixed_size: 0
    .sgpr_count:     37
    .sgpr_spill_count: 0
    .symbol:         _ZN4vllm15cp_gather_cacheItEEvPKT_PS1_PKiS6_iillllS6_.kd
    .uniform_work_group_size: 1
    .uses_dynamic_stack: false
    .vgpr_count:     8
    .vgpr_spill_count: 0
    .wavefront_size: 64
  - .agpr_count:     0
    .args:
      - .actual_access:  read_only
        .address_space:  global
        .offset:         0
        .size:           8
        .value_kind:     global_buffer
      - .actual_access:  write_only
        .address_space:  global
        .offset:         8
        .size:           8
        .value_kind:     global_buffer
      - .actual_access:  read_only
        .address_space:  global
        .offset:         16
        .size:           8
        .value_kind:     global_buffer
      - .actual_access:  read_only
        .address_space:  global
        .offset:         24
        .size:           8
        .value_kind:     global_buffer
      - .offset:         32
        .size:           4
        .value_kind:     by_value
      - .offset:         36
        .size:           4
        .value_kind:     by_value
      - .offset:         40
        .size:           8
        .value_kind:     by_value
      - .offset:         48
        .size:           8
        .value_kind:     by_value
      - .offset:         56
        .size:           8
        .value_kind:     by_value
      - .offset:         64
        .size:           8
        .value_kind:     by_value
      - .actual_access:  read_only
        .address_space:  global
        .offset:         72
        .size:           8
        .value_kind:     global_buffer
      - .offset:         80
        .size:           4
        .value_kind:     hidden_block_count_x
      - .offset:         84
        .size:           4
        .value_kind:     hidden_block_count_y
      - .offset:         88
        .size:           4
        .value_kind:     hidden_block_count_z
      - .offset:         92
        .size:           2
        .value_kind:     hidden_group_size_x
      - .offset:         94
        .size:           2
        .value_kind:     hidden_group_size_y
      - .offset:         96
        .size:           2
        .value_kind:     hidden_group_size_z
      - .offset:         98
        .size:           2
        .value_kind:     hidden_remainder_x
      - .offset:         100
        .size:           2
        .value_kind:     hidden_remainder_y
      - .offset:         102
        .size:           2
        .value_kind:     hidden_remainder_z
      - .offset:         120
        .size:           8
        .value_kind:     hidden_global_offset_x
      - .offset:         128
        .size:           8
        .value_kind:     hidden_global_offset_y
      - .offset:         136
        .size:           8
        .value_kind:     hidden_global_offset_z
      - .offset:         144
        .size:           2
        .value_kind:     hidden_grid_dims
    .group_segment_fixed_size: 0
    .kernarg_segment_align: 8
    .kernarg_segment_size: 336
    .language:       OpenCL C
    .language_version:
      - 2
      - 0
    .max_flat_workgroup_size: 1024
    .name:           _ZN4vllm15cp_gather_cacheIhEEvPKT_PS1_PKiS6_iillllS6_
    .private_segment_fixed_size: 0
    .sgpr_count:     37
    .sgpr_spill_count: 0
    .symbol:         _ZN4vllm15cp_gather_cacheIhEEvPKT_PS1_PKiS6_iillllS6_.kd
    .uniform_work_group_size: 1
    .uses_dynamic_stack: false
    .vgpr_count:     6
    .vgpr_spill_count: 0
    .wavefront_size: 64
  - .agpr_count:     0
    .args:
      - .actual_access:  read_only
        .address_space:  global
        .offset:         0
        .size:           8
        .value_kind:     global_buffer
      - .actual_access:  read_only
        .address_space:  global
        .offset:         8
        .size:           8
        .value_kind:     global_buffer
      - .actual_access:  read_only
        .address_space:  global
        .offset:         16
        .size:           8
        .value_kind:     global_buffer
      - .offset:         24
        .size:           4
        .value_kind:     by_value
      - .offset:         28
        .size:           4
        .value_kind:     by_value
      - .offset:         32
        .size:           4
        .value_kind:     by_value
      - .offset:         36
        .size:           4
        .value_kind:     by_value
      - .offset:         40
        .size:           1
        .value_kind:     by_value
      - .offset:         48
        .size:           4
        .value_kind:     hidden_block_count_x
      - .offset:         52
        .size:           4
        .value_kind:     hidden_block_count_y
      - .offset:         56
        .size:           4
        .value_kind:     hidden_block_count_z
      - .offset:         60
        .size:           2
        .value_kind:     hidden_group_size_x
      - .offset:         62
        .size:           2
        .value_kind:     hidden_group_size_y
      - .offset:         64
        .size:           2
        .value_kind:     hidden_group_size_z
      - .offset:         66
        .size:           2
        .value_kind:     hidden_remainder_x
      - .offset:         68
        .size:           2
        .value_kind:     hidden_remainder_y
      - .offset:         70
        .size:           2
        .value_kind:     hidden_remainder_z
      - .offset:         88
        .size:           8
        .value_kind:     hidden_global_offset_x
      - .offset:         96
        .size:           8
        .value_kind:     hidden_global_offset_y
      - .offset:         104
        .size:           8
        .value_kind:     hidden_global_offset_z
      - .offset:         112
        .size:           2
        .value_kind:     hidden_grid_dims
      - .offset:         128
        .size:           8
        .value_kind:     hidden_hostcall_buffer
    .group_segment_fixed_size: 0
    .kernarg_segment_align: 8
    .kernarg_segment_size: 304
    .language:       OpenCL C
    .language_version:
      - 2
      - 0
    .max_flat_workgroup_size: 1024
    .name:           _ZN4vllm32indexer_k_quant_and_cache_kernelIffLNS_18Fp8KVCacheDataTypeE0EEEvPKT_PT0_PKliiiib
    .private_segment_fixed_size: 64
    .sgpr_count:     40
    .sgpr_spill_count: 0
    .symbol:         _ZN4vllm32indexer_k_quant_and_cache_kernelIffLNS_18Fp8KVCacheDataTypeE0EEEvPKT_PT0_PKliiiib.kd
    .uniform_work_group_size: 1
    .uses_dynamic_stack: false
    .vgpr_count:     53
    .vgpr_spill_count: 0
    .wavefront_size: 64
  - .agpr_count:     0
    .args:
      - .actual_access:  read_only
        .address_space:  global
        .offset:         0
        .size:           8
        .value_kind:     global_buffer
      - .actual_access:  read_only
        .address_space:  global
        .offset:         8
        .size:           8
        .value_kind:     global_buffer
      - .actual_access:  read_only
        .address_space:  global
        .offset:         16
        .size:           8
        .value_kind:     global_buffer
      - .offset:         24
        .size:           4
        .value_kind:     by_value
      - .offset:         28
        .size:           4
        .value_kind:     by_value
      - .offset:         32
        .size:           4
        .value_kind:     by_value
      - .offset:         36
        .size:           4
        .value_kind:     by_value
      - .offset:         40
        .size:           1
        .value_kind:     by_value
      - .offset:         48
        .size:           4
        .value_kind:     hidden_block_count_x
      - .offset:         52
        .size:           4
        .value_kind:     hidden_block_count_y
      - .offset:         56
        .size:           4
        .value_kind:     hidden_block_count_z
      - .offset:         60
        .size:           2
        .value_kind:     hidden_group_size_x
      - .offset:         62
        .size:           2
        .value_kind:     hidden_group_size_y
      - .offset:         64
        .size:           2
        .value_kind:     hidden_group_size_z
      - .offset:         66
        .size:           2
        .value_kind:     hidden_remainder_x
      - .offset:         68
        .size:           2
        .value_kind:     hidden_remainder_y
      - .offset:         70
        .size:           2
        .value_kind:     hidden_remainder_z
      - .offset:         88
        .size:           8
        .value_kind:     hidden_global_offset_x
      - .offset:         96
        .size:           8
        .value_kind:     hidden_global_offset_y
      - .offset:         104
        .size:           8
        .value_kind:     hidden_global_offset_z
      - .offset:         112
        .size:           2
        .value_kind:     hidden_grid_dims
      - .offset:         128
        .size:           8
        .value_kind:     hidden_hostcall_buffer
    .group_segment_fixed_size: 0
    .kernarg_segment_align: 8
    .kernarg_segment_size: 304
    .language:       OpenCL C
    .language_version:
      - 2
      - 0
    .max_flat_workgroup_size: 1024
    .name:           _ZN4vllm32indexer_k_quant_and_cache_kernelIttLNS_18Fp8KVCacheDataTypeE0EEEvPKT_PT0_PKliiiib
    .private_segment_fixed_size: 64
    .sgpr_count:     40
    .sgpr_spill_count: 0
    .symbol:         _ZN4vllm32indexer_k_quant_and_cache_kernelIttLNS_18Fp8KVCacheDataTypeE0EEEvPKT_PT0_PKliiiib.kd
    .uniform_work_group_size: 1
    .uses_dynamic_stack: false
    .vgpr_count:     53
    .vgpr_spill_count: 0
    .wavefront_size: 64
  - .agpr_count:     0
    .args:
      - .actual_access:  read_only
        .address_space:  global
        .offset:         0
        .size:           8
        .value_kind:     global_buffer
      - .actual_access:  read_only
        .address_space:  global
        .offset:         8
        .size:           8
        .value_kind:     global_buffer
      - .actual_access:  read_only
        .address_space:  global
        .offset:         16
        .size:           8
        .value_kind:     global_buffer
      - .offset:         24
        .size:           4
        .value_kind:     by_value
      - .offset:         28
        .size:           4
        .value_kind:     by_value
      - .offset:         32
        .size:           4
        .value_kind:     by_value
      - .offset:         36
        .size:           4
        .value_kind:     by_value
      - .offset:         40
        .size:           1
        .value_kind:     by_value
      - .offset:         48
        .size:           4
        .value_kind:     hidden_block_count_x
      - .offset:         52
        .size:           4
        .value_kind:     hidden_block_count_y
      - .offset:         56
        .size:           4
        .value_kind:     hidden_block_count_z
      - .offset:         60
        .size:           2
        .value_kind:     hidden_group_size_x
      - .offset:         62
        .size:           2
        .value_kind:     hidden_group_size_y
      - .offset:         64
        .size:           2
        .value_kind:     hidden_group_size_z
      - .offset:         66
        .size:           2
        .value_kind:     hidden_remainder_x
      - .offset:         68
        .size:           2
        .value_kind:     hidden_remainder_y
      - .offset:         70
        .size:           2
        .value_kind:     hidden_remainder_z
      - .offset:         88
        .size:           8
        .value_kind:     hidden_global_offset_x
      - .offset:         96
        .size:           8
        .value_kind:     hidden_global_offset_y
      - .offset:         104
        .size:           8
        .value_kind:     hidden_global_offset_z
      - .offset:         112
        .size:           2
        .value_kind:     hidden_grid_dims
      - .offset:         128
        .size:           8
        .value_kind:     hidden_hostcall_buffer
    .group_segment_fixed_size: 0
    .kernarg_segment_align: 8
    .kernarg_segment_size: 304
    .language:       OpenCL C
    .language_version:
      - 2
      - 0
    .max_flat_workgroup_size: 1024
    .name:           _ZN4vllm32indexer_k_quant_and_cache_kernelI14__hip_bfloat16S1_LNS_18Fp8KVCacheDataTypeE0EEEvPKT_PT0_PKliiiib
    .private_segment_fixed_size: 64
    .sgpr_count:     40
    .sgpr_spill_count: 0
    .symbol:         _ZN4vllm32indexer_k_quant_and_cache_kernelI14__hip_bfloat16S1_LNS_18Fp8KVCacheDataTypeE0EEEvPKT_PT0_PKliiiib.kd
    .uniform_work_group_size: 1
    .uses_dynamic_stack: false
    .vgpr_count:     53
    .vgpr_spill_count: 0
    .wavefront_size: 64
  - .agpr_count:     0
    .args:
      - .actual_access:  read_only
        .address_space:  global
        .offset:         0
        .size:           8
        .value_kind:     global_buffer
      - .actual_access:  write_only
        .address_space:  global
        .offset:         8
        .size:           8
        .value_kind:     global_buffer
      - .actual_access:  read_only
        .address_space:  global
        .offset:         16
        .size:           8
        .value_kind:     global_buffer
      - .offset:         24
        .size:           4
        .value_kind:     by_value
      - .offset:         28
        .size:           4
        .value_kind:     by_value
      - .offset:         32
        .size:           4
        .value_kind:     by_value
      - .offset:         36
        .size:           4
        .value_kind:     by_value
      - .offset:         40
        .size:           1
        .value_kind:     by_value
      - .offset:         48
        .size:           4
        .value_kind:     hidden_block_count_x
      - .offset:         52
        .size:           4
        .value_kind:     hidden_block_count_y
      - .offset:         56
        .size:           4
        .value_kind:     hidden_block_count_z
      - .offset:         60
        .size:           2
        .value_kind:     hidden_group_size_x
      - .offset:         62
        .size:           2
        .value_kind:     hidden_group_size_y
      - .offset:         64
        .size:           2
        .value_kind:     hidden_group_size_z
      - .offset:         66
        .size:           2
        .value_kind:     hidden_remainder_x
      - .offset:         68
        .size:           2
        .value_kind:     hidden_remainder_y
      - .offset:         70
        .size:           2
        .value_kind:     hidden_remainder_z
      - .offset:         88
        .size:           8
        .value_kind:     hidden_global_offset_x
      - .offset:         96
        .size:           8
        .value_kind:     hidden_global_offset_y
      - .offset:         104
        .size:           8
        .value_kind:     hidden_global_offset_z
      - .offset:         112
        .size:           2
        .value_kind:     hidden_grid_dims
    .group_segment_fixed_size: 0
    .kernarg_segment_align: 8
    .kernarg_segment_size: 304
    .language:       OpenCL C
    .language_version:
      - 2
      - 0
    .max_flat_workgroup_size: 1024
    .name:           _ZN4vllm32indexer_k_quant_and_cache_kernelIfhLNS_18Fp8KVCacheDataTypeE1EEEvPKT_PT0_PKliiiib
    .private_segment_fixed_size: 0
    .sgpr_count:     31
    .sgpr_spill_count: 0
    .symbol:         _ZN4vllm32indexer_k_quant_and_cache_kernelIfhLNS_18Fp8KVCacheDataTypeE1EEEvPKT_PT0_PKliiiib.kd
    .uniform_work_group_size: 1
    .uses_dynamic_stack: false
    .vgpr_count:     20
    .vgpr_spill_count: 0
    .wavefront_size: 64
  - .agpr_count:     0
    .args:
      - .actual_access:  read_only
        .address_space:  global
        .offset:         0
        .size:           8
        .value_kind:     global_buffer
      - .actual_access:  write_only
        .address_space:  global
        .offset:         8
        .size:           8
        .value_kind:     global_buffer
      - .actual_access:  read_only
        .address_space:  global
        .offset:         16
        .size:           8
        .value_kind:     global_buffer
      - .offset:         24
        .size:           4
        .value_kind:     by_value
      - .offset:         28
        .size:           4
        .value_kind:     by_value
      - .offset:         32
        .size:           4
        .value_kind:     by_value
      - .offset:         36
        .size:           4
        .value_kind:     by_value
      - .offset:         40
        .size:           1
        .value_kind:     by_value
      - .offset:         48
        .size:           4
        .value_kind:     hidden_block_count_x
      - .offset:         52
        .size:           4
        .value_kind:     hidden_block_count_y
      - .offset:         56
        .size:           4
        .value_kind:     hidden_block_count_z
      - .offset:         60
        .size:           2
        .value_kind:     hidden_group_size_x
      - .offset:         62
        .size:           2
        .value_kind:     hidden_group_size_y
      - .offset:         64
        .size:           2
        .value_kind:     hidden_group_size_z
      - .offset:         66
        .size:           2
        .value_kind:     hidden_remainder_x
      - .offset:         68
        .size:           2
        .value_kind:     hidden_remainder_y
      - .offset:         70
        .size:           2
        .value_kind:     hidden_remainder_z
      - .offset:         88
        .size:           8
        .value_kind:     hidden_global_offset_x
      - .offset:         96
        .size:           8
        .value_kind:     hidden_global_offset_y
      - .offset:         104
        .size:           8
        .value_kind:     hidden_global_offset_z
      - .offset:         112
        .size:           2
        .value_kind:     hidden_grid_dims
    .group_segment_fixed_size: 0
    .kernarg_segment_align: 8
    .kernarg_segment_size: 304
    .language:       OpenCL C
    .language_version:
      - 2
      - 0
    .max_flat_workgroup_size: 1024
    .name:           _ZN4vllm32indexer_k_quant_and_cache_kernelIthLNS_18Fp8KVCacheDataTypeE1EEEvPKT_PT0_PKliiiib
    .private_segment_fixed_size: 0
    .sgpr_count:     31
    .sgpr_spill_count: 0
    .symbol:         _ZN4vllm32indexer_k_quant_and_cache_kernelIthLNS_18Fp8KVCacheDataTypeE1EEEvPKT_PT0_PKliiiib.kd
    .uniform_work_group_size: 1
    .uses_dynamic_stack: false
    .vgpr_count:     28
    .vgpr_spill_count: 0
    .wavefront_size: 64
  - .agpr_count:     0
    .args:
      - .actual_access:  read_only
        .address_space:  global
        .offset:         0
        .size:           8
        .value_kind:     global_buffer
      - .actual_access:  write_only
        .address_space:  global
        .offset:         8
        .size:           8
        .value_kind:     global_buffer
      - .actual_access:  read_only
        .address_space:  global
        .offset:         16
        .size:           8
        .value_kind:     global_buffer
      - .offset:         24
        .size:           4
        .value_kind:     by_value
      - .offset:         28
        .size:           4
        .value_kind:     by_value
      - .offset:         32
        .size:           4
        .value_kind:     by_value
      - .offset:         36
        .size:           4
        .value_kind:     by_value
      - .offset:         40
        .size:           1
        .value_kind:     by_value
      - .offset:         48
        .size:           4
        .value_kind:     hidden_block_count_x
      - .offset:         52
        .size:           4
        .value_kind:     hidden_block_count_y
      - .offset:         56
        .size:           4
        .value_kind:     hidden_block_count_z
      - .offset:         60
        .size:           2
        .value_kind:     hidden_group_size_x
      - .offset:         62
        .size:           2
        .value_kind:     hidden_group_size_y
      - .offset:         64
        .size:           2
        .value_kind:     hidden_group_size_z
      - .offset:         66
        .size:           2
        .value_kind:     hidden_remainder_x
      - .offset:         68
        .size:           2
        .value_kind:     hidden_remainder_y
      - .offset:         70
        .size:           2
        .value_kind:     hidden_remainder_z
      - .offset:         88
        .size:           8
        .value_kind:     hidden_global_offset_x
      - .offset:         96
        .size:           8
        .value_kind:     hidden_global_offset_y
      - .offset:         104
        .size:           8
        .value_kind:     hidden_global_offset_z
      - .offset:         112
        .size:           2
        .value_kind:     hidden_grid_dims
    .group_segment_fixed_size: 0
    .kernarg_segment_align: 8
    .kernarg_segment_size: 304
    .language:       OpenCL C
    .language_version:
      - 2
      - 0
    .max_flat_workgroup_size: 1024
    .name:           _ZN4vllm32indexer_k_quant_and_cache_kernelI14__hip_bfloat16hLNS_18Fp8KVCacheDataTypeE1EEEvPKT_PT0_PKliiiib
    .private_segment_fixed_size: 0
    .sgpr_count:     31
    .sgpr_spill_count: 0
    .symbol:         _ZN4vllm32indexer_k_quant_and_cache_kernelI14__hip_bfloat16hLNS_18Fp8KVCacheDataTypeE1EEEvPKT_PT0_PKliiiib.kd
    .uniform_work_group_size: 1
    .uses_dynamic_stack: false
    .vgpr_count:     28
    .vgpr_spill_count: 0
    .wavefront_size: 64
  - .agpr_count:     0
    .args:
      - .actual_access:  read_only
        .address_space:  global
        .offset:         0
        .size:           8
        .value_kind:     global_buffer
      - .actual_access:  write_only
        .address_space:  global
        .offset:         8
        .size:           8
        .value_kind:     global_buffer
      - .actual_access:  write_only
        .address_space:  global
        .offset:         16
        .size:           8
        .value_kind:     global_buffer
      - .actual_access:  read_only
        .address_space:  global
        .offset:         24
        .size:           8
        .value_kind:     global_buffer
      - .actual_access:  read_only
        .address_space:  global
        .offset:         32
        .size:           8
        .value_kind:     global_buffer
      - .offset:         40
        .size:           4
        .value_kind:     by_value
      - .offset:         48
        .size:           8
        .value_kind:     by_value
      - .offset:         56
        .size:           8
        .value_kind:     by_value
      - .offset:         64
        .size:           8
        .value_kind:     by_value
      - .offset:         72
        .size:           8
        .value_kind:     by_value
      - .offset:         80
        .size:           8
        .value_kind:     by_value
      - .offset:         88
        .size:           4
        .value_kind:     by_value
      - .offset:         92
        .size:           4
        .value_kind:     by_value
      - .offset:         96
        .size:           4
        .value_kind:     by_value
      - .offset:         104
        .size:           4
        .value_kind:     hidden_block_count_x
      - .offset:         108
        .size:           4
        .value_kind:     hidden_block_count_y
      - .offset:         112
        .size:           4
        .value_kind:     hidden_block_count_z
      - .offset:         116
        .size:           2
        .value_kind:     hidden_group_size_x
      - .offset:         118
        .size:           2
        .value_kind:     hidden_group_size_y
      - .offset:         120
        .size:           2
        .value_kind:     hidden_group_size_z
      - .offset:         122
        .size:           2
        .value_kind:     hidden_remainder_x
      - .offset:         124
        .size:           2
        .value_kind:     hidden_remainder_y
      - .offset:         126
        .size:           2
        .value_kind:     hidden_remainder_z
      - .offset:         144
        .size:           8
        .value_kind:     hidden_global_offset_x
      - .offset:         152
        .size:           8
        .value_kind:     hidden_global_offset_y
      - .offset:         160
        .size:           8
        .value_kind:     hidden_global_offset_z
      - .offset:         168
        .size:           2
        .value_kind:     hidden_grid_dims
    .group_segment_fixed_size: 4
    .kernarg_segment_align: 8
    .kernarg_segment_size: 360
    .language:       OpenCL C
    .language_version:
      - 2
      - 0
    .max_flat_workgroup_size: 1024
    .name:           _ZN4vllm38cp_gather_indexer_k_quant_cache_kernelILi1EEEvPKcPcS3_PKiS5_illllliii
    .private_segment_fixed_size: 0
    .sgpr_count:     32
    .sgpr_spill_count: 0
    .symbol:         _ZN4vllm38cp_gather_indexer_k_quant_cache_kernelILi1EEEvPKcPcS3_PKiS5_illllliii.kd
    .uniform_work_group_size: 1
    .uses_dynamic_stack: false
    .vgpr_count:     18
    .vgpr_spill_count: 0
    .wavefront_size: 64
  - .agpr_count:     0
    .args:
      - .actual_access:  read_only
        .address_space:  global
        .offset:         0
        .size:           8
        .value_kind:     global_buffer
      - .actual_access:  write_only
        .address_space:  global
        .offset:         8
        .size:           8
        .value_kind:     global_buffer
      - .actual_access:  write_only
        .address_space:  global
        .offset:         16
        .size:           8
        .value_kind:     global_buffer
      - .actual_access:  read_only
        .address_space:  global
        .offset:         24
        .size:           8
        .value_kind:     global_buffer
      - .actual_access:  read_only
        .address_space:  global
        .offset:         32
        .size:           8
        .value_kind:     global_buffer
      - .offset:         40
        .size:           4
        .value_kind:     by_value
      - .offset:         48
        .size:           8
        .value_kind:     by_value
      - .offset:         56
        .size:           8
        .value_kind:     by_value
      - .offset:         64
        .size:           8
        .value_kind:     by_value
      - .offset:         72
        .size:           8
        .value_kind:     by_value
      - .offset:         80
        .size:           8
        .value_kind:     by_value
      - .offset:         88
        .size:           4
        .value_kind:     by_value
      - .offset:         92
        .size:           4
        .value_kind:     by_value
      - .offset:         96
        .size:           4
        .value_kind:     by_value
      - .offset:         104
        .size:           4
        .value_kind:     hidden_block_count_x
      - .offset:         108
        .size:           4
        .value_kind:     hidden_block_count_y
      - .offset:         112
        .size:           4
        .value_kind:     hidden_block_count_z
      - .offset:         116
        .size:           2
        .value_kind:     hidden_group_size_x
      - .offset:         118
        .size:           2
        .value_kind:     hidden_group_size_y
      - .offset:         120
        .size:           2
        .value_kind:     hidden_group_size_z
      - .offset:         122
        .size:           2
        .value_kind:     hidden_remainder_x
      - .offset:         124
        .size:           2
        .value_kind:     hidden_remainder_y
      - .offset:         126
        .size:           2
        .value_kind:     hidden_remainder_z
      - .offset:         144
        .size:           8
        .value_kind:     hidden_global_offset_x
      - .offset:         152
        .size:           8
        .value_kind:     hidden_global_offset_y
      - .offset:         160
        .size:           8
        .value_kind:     hidden_global_offset_z
      - .offset:         168
        .size:           2
        .value_kind:     hidden_grid_dims
    .group_segment_fixed_size: 8
    .kernarg_segment_align: 8
    .kernarg_segment_size: 360
    .language:       OpenCL C
    .language_version:
      - 2
      - 0
    .max_flat_workgroup_size: 1024
    .name:           _ZN4vllm38cp_gather_indexer_k_quant_cache_kernelILi2EEEvPKcPcS3_PKiS5_illllliii
    .private_segment_fixed_size: 0
    .sgpr_count:     32
    .sgpr_spill_count: 0
    .symbol:         _ZN4vllm38cp_gather_indexer_k_quant_cache_kernelILi2EEEvPKcPcS3_PKiS5_illllliii.kd
    .uniform_work_group_size: 1
    .uses_dynamic_stack: false
    .vgpr_count:     18
    .vgpr_spill_count: 0
    .wavefront_size: 64
  - .agpr_count:     0
    .args:
      - .actual_access:  read_only
        .address_space:  global
        .offset:         0
        .size:           8
        .value_kind:     global_buffer
      - .actual_access:  write_only
        .address_space:  global
        .offset:         8
        .size:           8
        .value_kind:     global_buffer
      - .actual_access:  write_only
        .address_space:  global
        .offset:         16
        .size:           8
        .value_kind:     global_buffer
      - .actual_access:  read_only
        .address_space:  global
        .offset:         24
        .size:           8
        .value_kind:     global_buffer
      - .actual_access:  read_only
        .address_space:  global
        .offset:         32
        .size:           8
        .value_kind:     global_buffer
      - .offset:         40
        .size:           4
        .value_kind:     by_value
      - .offset:         48
        .size:           8
        .value_kind:     by_value
      - .offset:         56
        .size:           8
        .value_kind:     by_value
      - .offset:         64
        .size:           8
        .value_kind:     by_value
      - .offset:         72
        .size:           8
        .value_kind:     by_value
      - .offset:         80
        .size:           8
        .value_kind:     by_value
      - .offset:         88
        .size:           4
        .value_kind:     by_value
      - .offset:         92
        .size:           4
        .value_kind:     by_value
      - .offset:         96
        .size:           4
        .value_kind:     by_value
      - .offset:         104
        .size:           4
        .value_kind:     hidden_block_count_x
      - .offset:         108
        .size:           4
        .value_kind:     hidden_block_count_y
      - .offset:         112
        .size:           4
        .value_kind:     hidden_block_count_z
      - .offset:         116
        .size:           2
        .value_kind:     hidden_group_size_x
      - .offset:         118
        .size:           2
        .value_kind:     hidden_group_size_y
      - .offset:         120
        .size:           2
        .value_kind:     hidden_group_size_z
      - .offset:         122
        .size:           2
        .value_kind:     hidden_remainder_x
      - .offset:         124
        .size:           2
        .value_kind:     hidden_remainder_y
      - .offset:         126
        .size:           2
        .value_kind:     hidden_remainder_z
      - .offset:         144
        .size:           8
        .value_kind:     hidden_global_offset_x
      - .offset:         152
        .size:           8
        .value_kind:     hidden_global_offset_y
      - .offset:         160
        .size:           8
        .value_kind:     hidden_global_offset_z
      - .offset:         168
        .size:           2
        .value_kind:     hidden_grid_dims
    .group_segment_fixed_size: 16
    .kernarg_segment_align: 8
    .kernarg_segment_size: 360
    .language:       OpenCL C
    .language_version:
      - 2
      - 0
    .max_flat_workgroup_size: 1024
    .name:           _ZN4vllm38cp_gather_indexer_k_quant_cache_kernelILi4EEEvPKcPcS3_PKiS5_illllliii
    .private_segment_fixed_size: 0
    .sgpr_count:     32
    .sgpr_spill_count: 0
    .symbol:         _ZN4vllm38cp_gather_indexer_k_quant_cache_kernelILi4EEEvPKcPcS3_PKiS5_illllliii.kd
    .uniform_work_group_size: 1
    .uses_dynamic_stack: false
    .vgpr_count:     18
    .vgpr_spill_count: 0
    .wavefront_size: 64
  - .agpr_count:     0
    .args:
      - .actual_access:  read_only
        .address_space:  global
        .offset:         0
        .size:           8
        .value_kind:     global_buffer
      - .actual_access:  write_only
        .address_space:  global
        .offset:         8
        .size:           8
        .value_kind:     global_buffer
      - .actual_access:  write_only
        .address_space:  global
        .offset:         16
        .size:           8
        .value_kind:     global_buffer
      - .actual_access:  read_only
        .address_space:  global
        .offset:         24
        .size:           8
        .value_kind:     global_buffer
      - .actual_access:  read_only
        .address_space:  global
        .offset:         32
        .size:           8
        .value_kind:     global_buffer
      - .offset:         40
        .size:           4
        .value_kind:     by_value
      - .offset:         48
        .size:           8
        .value_kind:     by_value
      - .offset:         56
        .size:           8
        .value_kind:     by_value
      - .offset:         64
        .size:           8
        .value_kind:     by_value
      - .offset:         72
        .size:           8
        .value_kind:     by_value
      - .offset:         80
        .size:           8
        .value_kind:     by_value
      - .offset:         88
        .size:           4
        .value_kind:     by_value
      - .offset:         92
        .size:           4
        .value_kind:     by_value
      - .offset:         96
        .size:           4
        .value_kind:     by_value
      - .offset:         104
        .size:           4
        .value_kind:     hidden_block_count_x
      - .offset:         108
        .size:           4
        .value_kind:     hidden_block_count_y
      - .offset:         112
        .size:           4
        .value_kind:     hidden_block_count_z
      - .offset:         116
        .size:           2
        .value_kind:     hidden_group_size_x
      - .offset:         118
        .size:           2
        .value_kind:     hidden_group_size_y
      - .offset:         120
        .size:           2
        .value_kind:     hidden_group_size_z
      - .offset:         122
        .size:           2
        .value_kind:     hidden_remainder_x
      - .offset:         124
        .size:           2
        .value_kind:     hidden_remainder_y
      - .offset:         126
        .size:           2
        .value_kind:     hidden_remainder_z
      - .offset:         144
        .size:           8
        .value_kind:     hidden_global_offset_x
      - .offset:         152
        .size:           8
        .value_kind:     hidden_global_offset_y
      - .offset:         160
        .size:           8
        .value_kind:     hidden_global_offset_z
      - .offset:         168
        .size:           2
        .value_kind:     hidden_grid_dims
    .group_segment_fixed_size: 32
    .kernarg_segment_align: 8
    .kernarg_segment_size: 360
    .language:       OpenCL C
    .language_version:
      - 2
      - 0
    .max_flat_workgroup_size: 1024
    .name:           _ZN4vllm38cp_gather_indexer_k_quant_cache_kernelILi8EEEvPKcPcS3_PKiS5_illllliii
    .private_segment_fixed_size: 0
    .sgpr_count:     32
    .sgpr_spill_count: 0
    .symbol:         _ZN4vllm38cp_gather_indexer_k_quant_cache_kernelILi8EEEvPKcPcS3_PKiS5_illllliii.kd
    .uniform_work_group_size: 1
    .uses_dynamic_stack: false
    .vgpr_count:     18
    .vgpr_spill_count: 0
    .wavefront_size: 64
  - .agpr_count:     0
    .args:
      - .actual_access:  read_only
        .address_space:  global
        .offset:         0
        .size:           8
        .value_kind:     global_buffer
      - .actual_access:  write_only
        .address_space:  global
        .offset:         8
        .size:           8
        .value_kind:     global_buffer
      - .actual_access:  write_only
        .address_space:  global
        .offset:         16
        .size:           8
        .value_kind:     global_buffer
      - .actual_access:  read_only
        .address_space:  global
        .offset:         24
        .size:           8
        .value_kind:     global_buffer
      - .actual_access:  read_only
        .address_space:  global
        .offset:         32
        .size:           8
        .value_kind:     global_buffer
      - .offset:         40
        .size:           4
        .value_kind:     by_value
      - .offset:         48
        .size:           8
        .value_kind:     by_value
      - .offset:         56
        .size:           8
        .value_kind:     by_value
      - .offset:         64
        .size:           8
        .value_kind:     by_value
      - .offset:         72
        .size:           8
        .value_kind:     by_value
      - .offset:         80
        .size:           8
        .value_kind:     by_value
      - .offset:         88
        .size:           4
        .value_kind:     by_value
      - .offset:         92
        .size:           4
        .value_kind:     by_value
      - .offset:         96
        .size:           4
        .value_kind:     by_value
      - .offset:         104
        .size:           4
        .value_kind:     hidden_block_count_x
      - .offset:         108
        .size:           4
        .value_kind:     hidden_block_count_y
      - .offset:         112
        .size:           4
        .value_kind:     hidden_block_count_z
      - .offset:         116
        .size:           2
        .value_kind:     hidden_group_size_x
      - .offset:         118
        .size:           2
        .value_kind:     hidden_group_size_y
      - .offset:         120
        .size:           2
        .value_kind:     hidden_group_size_z
      - .offset:         122
        .size:           2
        .value_kind:     hidden_remainder_x
      - .offset:         124
        .size:           2
        .value_kind:     hidden_remainder_y
      - .offset:         126
        .size:           2
        .value_kind:     hidden_remainder_z
      - .offset:         144
        .size:           8
        .value_kind:     hidden_global_offset_x
      - .offset:         152
        .size:           8
        .value_kind:     hidden_global_offset_y
      - .offset:         160
        .size:           8
        .value_kind:     hidden_global_offset_z
      - .offset:         168
        .size:           2
        .value_kind:     hidden_grid_dims
    .group_segment_fixed_size: 64
    .kernarg_segment_align: 8
    .kernarg_segment_size: 360
    .language:       OpenCL C
    .language_version:
      - 2
      - 0
    .max_flat_workgroup_size: 1024
    .name:           _ZN4vllm38cp_gather_indexer_k_quant_cache_kernelILi16EEEvPKcPcS3_PKiS5_illllliii
    .private_segment_fixed_size: 0
    .sgpr_count:     32
    .sgpr_spill_count: 0
    .symbol:         _ZN4vllm38cp_gather_indexer_k_quant_cache_kernelILi16EEEvPKcPcS3_PKiS5_illllliii.kd
    .uniform_work_group_size: 1
    .uses_dynamic_stack: false
    .vgpr_count:     18
    .vgpr_spill_count: 0
    .wavefront_size: 64
  - .agpr_count:     0
    .args:
      - .actual_access:  read_only
        .address_space:  global
        .offset:         0
        .size:           8
        .value_kind:     global_buffer
      - .actual_access:  write_only
        .address_space:  global
        .offset:         8
        .size:           8
        .value_kind:     global_buffer
      - .actual_access:  write_only
        .address_space:  global
        .offset:         16
        .size:           8
        .value_kind:     global_buffer
      - .actual_access:  read_only
        .address_space:  global
        .offset:         24
        .size:           8
        .value_kind:     global_buffer
      - .actual_access:  read_only
        .address_space:  global
        .offset:         32
        .size:           8
        .value_kind:     global_buffer
      - .offset:         40
        .size:           4
        .value_kind:     by_value
      - .offset:         48
        .size:           8
        .value_kind:     by_value
      - .offset:         56
        .size:           8
        .value_kind:     by_value
      - .offset:         64
        .size:           8
        .value_kind:     by_value
      - .offset:         72
        .size:           8
        .value_kind:     by_value
      - .offset:         80
        .size:           8
        .value_kind:     by_value
      - .offset:         88
        .size:           4
        .value_kind:     by_value
      - .offset:         92
        .size:           4
        .value_kind:     by_value
      - .offset:         96
        .size:           4
        .value_kind:     by_value
      - .offset:         104
        .size:           4
        .value_kind:     hidden_block_count_x
      - .offset:         108
        .size:           4
        .value_kind:     hidden_block_count_y
      - .offset:         112
        .size:           4
        .value_kind:     hidden_block_count_z
      - .offset:         116
        .size:           2
        .value_kind:     hidden_group_size_x
      - .offset:         118
        .size:           2
        .value_kind:     hidden_group_size_y
      - .offset:         120
        .size:           2
        .value_kind:     hidden_group_size_z
      - .offset:         122
        .size:           2
        .value_kind:     hidden_remainder_x
      - .offset:         124
        .size:           2
        .value_kind:     hidden_remainder_y
      - .offset:         126
        .size:           2
        .value_kind:     hidden_remainder_z
      - .offset:         144
        .size:           8
        .value_kind:     hidden_global_offset_x
      - .offset:         152
        .size:           8
        .value_kind:     hidden_global_offset_y
      - .offset:         160
        .size:           8
        .value_kind:     hidden_global_offset_z
      - .offset:         168
        .size:           2
        .value_kind:     hidden_grid_dims
    .group_segment_fixed_size: 128
    .kernarg_segment_align: 8
    .kernarg_segment_size: 360
    .language:       OpenCL C
    .language_version:
      - 2
      - 0
    .max_flat_workgroup_size: 1024
    .name:           _ZN4vllm38cp_gather_indexer_k_quant_cache_kernelILi32EEEvPKcPcS3_PKiS5_illllliii
    .private_segment_fixed_size: 0
    .sgpr_count:     32
    .sgpr_spill_count: 0
    .symbol:         _ZN4vllm38cp_gather_indexer_k_quant_cache_kernelILi32EEEvPKcPcS3_PKiS5_illllliii.kd
    .uniform_work_group_size: 1
    .uses_dynamic_stack: false
    .vgpr_count:     18
    .vgpr_spill_count: 0
    .wavefront_size: 64
  - .agpr_count:     0
    .args:
      - .actual_access:  write_only
        .address_space:  global
        .offset:         0
        .size:           8
        .value_kind:     global_buffer
      - .actual_access:  read_only
        .address_space:  global
        .offset:         8
        .size:           8
        .value_kind:     global_buffer
      - .actual_access:  read_only
        .address_space:  global
        .offset:         16
        .size:           8
        .value_kind:     global_buffer
      - .offset:         24
        .size:           4
        .value_kind:     by_value
      - .offset:         28
        .size:           4
        .value_kind:     by_value
      - .offset:         32
        .size:           8
        .value_kind:     by_value
      - .offset:         40
        .size:           8
        .value_kind:     by_value
      - .offset:         48
        .size:           8
        .value_kind:     by_value
      - .offset:         56
        .size:           8
        .value_kind:     by_value
      - .offset:         64
        .size:           8
        .value_kind:     by_value
      - .offset:         72
        .size:           8
        .value_kind:     by_value
      - .offset:         80
        .size:           4
        .value_kind:     hidden_block_count_x
      - .offset:         84
        .size:           4
        .value_kind:     hidden_block_count_y
      - .offset:         88
        .size:           4
        .value_kind:     hidden_block_count_z
      - .offset:         92
        .size:           2
        .value_kind:     hidden_group_size_x
      - .offset:         94
        .size:           2
        .value_kind:     hidden_group_size_y
      - .offset:         96
        .size:           2
        .value_kind:     hidden_group_size_z
      - .offset:         98
        .size:           2
        .value_kind:     hidden_remainder_x
      - .offset:         100
        .size:           2
        .value_kind:     hidden_remainder_y
      - .offset:         102
        .size:           2
        .value_kind:     hidden_remainder_z
      - .offset:         120
        .size:           8
        .value_kind:     hidden_global_offset_x
      - .offset:         128
        .size:           8
        .value_kind:     hidden_global_offset_y
      - .offset:         136
        .size:           8
        .value_kind:     hidden_global_offset_z
      - .offset:         144
        .size:           2
        .value_kind:     hidden_grid_dims
    .group_segment_fixed_size: 0
    .kernarg_segment_align: 8
    .kernarg_segment_size: 336
    .language:       OpenCL C
    .language_version:
      - 2
      - 0
    .max_flat_workgroup_size: 1024
    .name:           _ZN4vllm16ConcatMLAQKernelIN3c104HalfELi512EEEvPT_PKS3_S6_iillllll
    .private_segment_fixed_size: 0
    .sgpr_count:     28
    .sgpr_spill_count: 0
    .symbol:         _ZN4vllm16ConcatMLAQKernelIN3c104HalfELi512EEEvPT_PKS3_S6_iillllll.kd
    .uniform_work_group_size: 1
    .uses_dynamic_stack: false
    .vgpr_count:     19
    .vgpr_spill_count: 0
    .wavefront_size: 64
  - .agpr_count:     0
    .args:
      - .actual_access:  write_only
        .address_space:  global
        .offset:         0
        .size:           8
        .value_kind:     global_buffer
      - .actual_access:  read_only
        .address_space:  global
        .offset:         8
        .size:           8
        .value_kind:     global_buffer
      - .actual_access:  read_only
        .address_space:  global
        .offset:         16
        .size:           8
        .value_kind:     global_buffer
      - .offset:         24
        .size:           4
        .value_kind:     by_value
      - .offset:         28
        .size:           4
        .value_kind:     by_value
      - .offset:         32
        .size:           8
        .value_kind:     by_value
      - .offset:         40
        .size:           8
        .value_kind:     by_value
      - .offset:         48
        .size:           8
        .value_kind:     by_value
      - .offset:         56
        .size:           8
        .value_kind:     by_value
      - .offset:         64
        .size:           8
        .value_kind:     by_value
      - .offset:         72
        .size:           8
        .value_kind:     by_value
      - .offset:         80
        .size:           4
        .value_kind:     hidden_block_count_x
      - .offset:         84
        .size:           4
        .value_kind:     hidden_block_count_y
      - .offset:         88
        .size:           4
        .value_kind:     hidden_block_count_z
      - .offset:         92
        .size:           2
        .value_kind:     hidden_group_size_x
      - .offset:         94
        .size:           2
        .value_kind:     hidden_group_size_y
      - .offset:         96
        .size:           2
        .value_kind:     hidden_group_size_z
      - .offset:         98
        .size:           2
        .value_kind:     hidden_remainder_x
      - .offset:         100
        .size:           2
        .value_kind:     hidden_remainder_y
      - .offset:         102
        .size:           2
        .value_kind:     hidden_remainder_z
      - .offset:         120
        .size:           8
        .value_kind:     hidden_global_offset_x
      - .offset:         128
        .size:           8
        .value_kind:     hidden_global_offset_y
      - .offset:         136
        .size:           8
        .value_kind:     hidden_global_offset_z
      - .offset:         144
        .size:           2
        .value_kind:     hidden_grid_dims
    .group_segment_fixed_size: 0
    .kernarg_segment_align: 8
    .kernarg_segment_size: 336
    .language:       OpenCL C
    .language_version:
      - 2
      - 0
    .max_flat_workgroup_size: 1024
    .name:           _ZN4vllm16ConcatMLAQKernelIN3c108BFloat16ELi512EEEvPT_PKS3_S6_iillllll
    .private_segment_fixed_size: 0
    .sgpr_count:     28
    .sgpr_spill_count: 0
    .symbol:         _ZN4vllm16ConcatMLAQKernelIN3c108BFloat16ELi512EEEvPT_PKS3_S6_iillllll.kd
    .uniform_work_group_size: 1
    .uses_dynamic_stack: false
    .vgpr_count:     19
    .vgpr_spill_count: 0
    .wavefront_size: 64
amdhsa.target:   amdgcn-amd-amdhsa--gfx942
amdhsa.version:
  - 1
  - 2
...

	.end_amdgpu_metadata
